;; amdgpu-corpus repo=ROCm/rocFFT kind=compiled arch=gfx1030 opt=O3
	.text
	.amdgcn_target "amdgcn-amd-amdhsa--gfx1030"
	.amdhsa_code_object_version 6
	.protected	fft_rtc_back_len2250_factors_10_3_5_3_5_wgs_90_tpt_90_halfLds_dp_op_CI_CI_unitstride_sbrr_C2R_dirReg ; -- Begin function fft_rtc_back_len2250_factors_10_3_5_3_5_wgs_90_tpt_90_halfLds_dp_op_CI_CI_unitstride_sbrr_C2R_dirReg
	.globl	fft_rtc_back_len2250_factors_10_3_5_3_5_wgs_90_tpt_90_halfLds_dp_op_CI_CI_unitstride_sbrr_C2R_dirReg
	.p2align	8
	.type	fft_rtc_back_len2250_factors_10_3_5_3_5_wgs_90_tpt_90_halfLds_dp_op_CI_CI_unitstride_sbrr_C2R_dirReg,@function
fft_rtc_back_len2250_factors_10_3_5_3_5_wgs_90_tpt_90_halfLds_dp_op_CI_CI_unitstride_sbrr_C2R_dirReg: ; @fft_rtc_back_len2250_factors_10_3_5_3_5_wgs_90_tpt_90_halfLds_dp_op_CI_CI_unitstride_sbrr_C2R_dirReg
; %bb.0:
	s_clause 0x2
	s_load_dwordx4 s[12:15], s[4:5], 0x0
	s_load_dwordx4 s[8:11], s[4:5], 0x58
	;; [unrolled: 1-line block ×3, first 2 shown]
	v_mul_u32_u24_e32 v1, 0x2d9, v0
	v_mov_b32_e32 v3, 0
	v_add_nc_u32_sdwa v5, s6, v1 dst_sel:DWORD dst_unused:UNUSED_PAD src0_sel:DWORD src1_sel:WORD_1
	v_mov_b32_e32 v1, 0
	v_mov_b32_e32 v6, v3
	v_mov_b32_e32 v2, 0
	s_waitcnt lgkmcnt(0)
	v_cmp_lt_u64_e64 s0, s[14:15], 2
	s_and_b32 vcc_lo, exec_lo, s0
	s_cbranch_vccnz .LBB0_8
; %bb.1:
	s_load_dwordx2 s[0:1], s[4:5], 0x10
	v_mov_b32_e32 v1, 0
	v_mov_b32_e32 v2, 0
	s_add_u32 s2, s18, 8
	s_addc_u32 s3, s19, 0
	s_add_u32 s6, s16, 8
	s_addc_u32 s7, s17, 0
	v_mov_b32_e32 v173, v2
	v_mov_b32_e32 v172, v1
	s_mov_b64 s[22:23], 1
	s_waitcnt lgkmcnt(0)
	s_add_u32 s20, s0, 8
	s_addc_u32 s21, s1, 0
.LBB0_2:                                ; =>This Inner Loop Header: Depth=1
	s_load_dwordx2 s[24:25], s[20:21], 0x0
                                        ; implicit-def: $vgpr176_vgpr177
	s_mov_b32 s0, exec_lo
	s_waitcnt lgkmcnt(0)
	v_or_b32_e32 v4, s25, v6
	v_cmpx_ne_u64_e32 0, v[3:4]
	s_xor_b32 s1, exec_lo, s0
	s_cbranch_execz .LBB0_4
; %bb.3:                                ;   in Loop: Header=BB0_2 Depth=1
	v_cvt_f32_u32_e32 v4, s24
	v_cvt_f32_u32_e32 v7, s25
	s_sub_u32 s0, 0, s24
	s_subb_u32 s26, 0, s25
	v_fmac_f32_e32 v4, 0x4f800000, v7
	v_rcp_f32_e32 v4, v4
	v_mul_f32_e32 v4, 0x5f7ffffc, v4
	v_mul_f32_e32 v7, 0x2f800000, v4
	v_trunc_f32_e32 v7, v7
	v_fmac_f32_e32 v4, 0xcf800000, v7
	v_cvt_u32_f32_e32 v7, v7
	v_cvt_u32_f32_e32 v4, v4
	v_mul_lo_u32 v8, s0, v7
	v_mul_hi_u32 v9, s0, v4
	v_mul_lo_u32 v10, s26, v4
	v_add_nc_u32_e32 v8, v9, v8
	v_mul_lo_u32 v9, s0, v4
	v_add_nc_u32_e32 v8, v8, v10
	v_mul_hi_u32 v10, v4, v9
	v_mul_lo_u32 v11, v4, v8
	v_mul_hi_u32 v12, v4, v8
	v_mul_hi_u32 v13, v7, v9
	v_mul_lo_u32 v9, v7, v9
	v_mul_hi_u32 v14, v7, v8
	v_mul_lo_u32 v8, v7, v8
	v_add_co_u32 v10, vcc_lo, v10, v11
	v_add_co_ci_u32_e32 v11, vcc_lo, 0, v12, vcc_lo
	v_add_co_u32 v9, vcc_lo, v10, v9
	v_add_co_ci_u32_e32 v9, vcc_lo, v11, v13, vcc_lo
	v_add_co_ci_u32_e32 v10, vcc_lo, 0, v14, vcc_lo
	v_add_co_u32 v8, vcc_lo, v9, v8
	v_add_co_ci_u32_e32 v9, vcc_lo, 0, v10, vcc_lo
	v_add_co_u32 v4, vcc_lo, v4, v8
	v_add_co_ci_u32_e32 v7, vcc_lo, v7, v9, vcc_lo
	v_mul_hi_u32 v8, s0, v4
	v_mul_lo_u32 v10, s26, v4
	v_mul_lo_u32 v9, s0, v7
	v_add_nc_u32_e32 v8, v8, v9
	v_mul_lo_u32 v9, s0, v4
	v_add_nc_u32_e32 v8, v8, v10
	v_mul_hi_u32 v10, v4, v9
	v_mul_lo_u32 v11, v4, v8
	v_mul_hi_u32 v12, v4, v8
	v_mul_hi_u32 v13, v7, v9
	v_mul_lo_u32 v9, v7, v9
	v_mul_hi_u32 v14, v7, v8
	v_mul_lo_u32 v8, v7, v8
	v_add_co_u32 v10, vcc_lo, v10, v11
	v_add_co_ci_u32_e32 v11, vcc_lo, 0, v12, vcc_lo
	v_add_co_u32 v9, vcc_lo, v10, v9
	v_add_co_ci_u32_e32 v9, vcc_lo, v11, v13, vcc_lo
	v_add_co_ci_u32_e32 v10, vcc_lo, 0, v14, vcc_lo
	v_add_co_u32 v8, vcc_lo, v9, v8
	v_add_co_ci_u32_e32 v9, vcc_lo, 0, v10, vcc_lo
	v_add_co_u32 v4, vcc_lo, v4, v8
	v_add_co_ci_u32_e32 v11, vcc_lo, v7, v9, vcc_lo
	v_mul_hi_u32 v13, v5, v4
	v_mad_u64_u32 v[9:10], null, v6, v4, 0
	v_mad_u64_u32 v[7:8], null, v5, v11, 0
	;; [unrolled: 1-line block ×3, first 2 shown]
	v_add_co_u32 v4, vcc_lo, v13, v7
	v_add_co_ci_u32_e32 v7, vcc_lo, 0, v8, vcc_lo
	v_add_co_u32 v4, vcc_lo, v4, v9
	v_add_co_ci_u32_e32 v4, vcc_lo, v7, v10, vcc_lo
	v_add_co_ci_u32_e32 v7, vcc_lo, 0, v12, vcc_lo
	v_add_co_u32 v4, vcc_lo, v4, v11
	v_add_co_ci_u32_e32 v9, vcc_lo, 0, v7, vcc_lo
	v_mul_lo_u32 v10, s25, v4
	v_mad_u64_u32 v[7:8], null, s24, v4, 0
	v_mul_lo_u32 v11, s24, v9
	v_sub_co_u32 v7, vcc_lo, v5, v7
	v_add3_u32 v8, v8, v11, v10
	v_sub_nc_u32_e32 v10, v6, v8
	v_subrev_co_ci_u32_e64 v10, s0, s25, v10, vcc_lo
	v_add_co_u32 v11, s0, v4, 2
	v_add_co_ci_u32_e64 v12, s0, 0, v9, s0
	v_sub_co_u32 v13, s0, v7, s24
	v_sub_co_ci_u32_e32 v8, vcc_lo, v6, v8, vcc_lo
	v_subrev_co_ci_u32_e64 v10, s0, 0, v10, s0
	v_cmp_le_u32_e32 vcc_lo, s24, v13
	v_cmp_eq_u32_e64 s0, s25, v8
	v_cndmask_b32_e64 v13, 0, -1, vcc_lo
	v_cmp_le_u32_e32 vcc_lo, s25, v10
	v_cndmask_b32_e64 v14, 0, -1, vcc_lo
	v_cmp_le_u32_e32 vcc_lo, s24, v7
	;; [unrolled: 2-line block ×3, first 2 shown]
	v_cndmask_b32_e64 v15, 0, -1, vcc_lo
	v_cmp_eq_u32_e32 vcc_lo, s25, v10
	v_cndmask_b32_e64 v7, v15, v7, s0
	v_cndmask_b32_e32 v10, v14, v13, vcc_lo
	v_add_co_u32 v13, vcc_lo, v4, 1
	v_add_co_ci_u32_e32 v14, vcc_lo, 0, v9, vcc_lo
	v_cmp_ne_u32_e32 vcc_lo, 0, v10
	v_cndmask_b32_e32 v8, v14, v12, vcc_lo
	v_cndmask_b32_e32 v10, v13, v11, vcc_lo
	v_cmp_ne_u32_e32 vcc_lo, 0, v7
	v_cndmask_b32_e32 v177, v9, v8, vcc_lo
	v_cndmask_b32_e32 v176, v4, v10, vcc_lo
.LBB0_4:                                ;   in Loop: Header=BB0_2 Depth=1
	s_andn2_saveexec_b32 s0, s1
	s_cbranch_execz .LBB0_6
; %bb.5:                                ;   in Loop: Header=BB0_2 Depth=1
	v_cvt_f32_u32_e32 v4, s24
	s_sub_i32 s1, 0, s24
	v_mov_b32_e32 v177, v3
	v_rcp_iflag_f32_e32 v4, v4
	v_mul_f32_e32 v4, 0x4f7ffffe, v4
	v_cvt_u32_f32_e32 v4, v4
	v_mul_lo_u32 v7, s1, v4
	v_mul_hi_u32 v7, v4, v7
	v_add_nc_u32_e32 v4, v4, v7
	v_mul_hi_u32 v4, v5, v4
	v_mul_lo_u32 v7, v4, s24
	v_add_nc_u32_e32 v8, 1, v4
	v_sub_nc_u32_e32 v7, v5, v7
	v_subrev_nc_u32_e32 v9, s24, v7
	v_cmp_le_u32_e32 vcc_lo, s24, v7
	v_cndmask_b32_e32 v7, v7, v9, vcc_lo
	v_cndmask_b32_e32 v4, v4, v8, vcc_lo
	v_cmp_le_u32_e32 vcc_lo, s24, v7
	v_add_nc_u32_e32 v8, 1, v4
	v_cndmask_b32_e32 v176, v4, v8, vcc_lo
.LBB0_6:                                ;   in Loop: Header=BB0_2 Depth=1
	s_or_b32 exec_lo, exec_lo, s0
	v_mul_lo_u32 v4, v177, s24
	v_mul_lo_u32 v9, v176, s25
	s_load_dwordx2 s[0:1], s[6:7], 0x0
	v_mad_u64_u32 v[7:8], null, v176, s24, 0
	s_load_dwordx2 s[24:25], s[2:3], 0x0
	s_add_u32 s22, s22, 1
	s_addc_u32 s23, s23, 0
	s_add_u32 s2, s2, 8
	s_addc_u32 s3, s3, 0
	s_add_u32 s6, s6, 8
	v_add3_u32 v4, v8, v9, v4
	v_sub_co_u32 v5, vcc_lo, v5, v7
	s_addc_u32 s7, s7, 0
	s_add_u32 s20, s20, 8
	v_sub_co_ci_u32_e32 v4, vcc_lo, v6, v4, vcc_lo
	s_addc_u32 s21, s21, 0
	s_waitcnt lgkmcnt(0)
	v_mul_lo_u32 v6, s0, v4
	v_mul_lo_u32 v7, s1, v5
	v_mad_u64_u32 v[1:2], null, s0, v5, v[1:2]
	v_mul_lo_u32 v4, s24, v4
	v_mul_lo_u32 v8, s25, v5
	v_mad_u64_u32 v[172:173], null, s24, v5, v[172:173]
	v_cmp_ge_u64_e64 s0, s[22:23], s[14:15]
	v_add3_u32 v2, v7, v2, v6
	v_add3_u32 v173, v8, v173, v4
	s_and_b32 vcc_lo, exec_lo, s0
	s_cbranch_vccnz .LBB0_9
; %bb.7:                                ;   in Loop: Header=BB0_2 Depth=1
	v_mov_b32_e32 v5, v176
	v_mov_b32_e32 v6, v177
	s_branch .LBB0_2
.LBB0_8:
	v_mov_b32_e32 v173, v2
	v_mov_b32_e32 v177, v6
	;; [unrolled: 1-line block ×4, first 2 shown]
.LBB0_9:
	s_load_dwordx2 s[0:1], s[4:5], 0x28
	v_mul_hi_u32 v3, 0x2d82d83, v0
	s_lshl_b64 s[4:5], s[14:15], 3
                                        ; implicit-def: $vgpr174
	s_add_u32 s2, s18, s4
	s_addc_u32 s3, s19, s5
	s_waitcnt lgkmcnt(0)
	v_cmp_gt_u64_e32 vcc_lo, s[0:1], v[176:177]
	v_cmp_le_u64_e64 s0, s[0:1], v[176:177]
	s_and_saveexec_b32 s1, s0
	s_xor_b32 s0, exec_lo, s1
; %bb.10:
	v_mul_u32_u24_e32 v1, 0x5a, v3
                                        ; implicit-def: $vgpr3
	v_sub_nc_u32_e32 v174, v0, v1
                                        ; implicit-def: $vgpr0
                                        ; implicit-def: $vgpr1_vgpr2
; %bb.11:
	s_or_saveexec_b32 s1, s0
	s_load_dwordx2 s[2:3], s[2:3], 0x0
	s_xor_b32 exec_lo, exec_lo, s1
	s_cbranch_execz .LBB0_15
; %bb.12:
	s_add_u32 s4, s16, s4
	s_addc_u32 s5, s17, s5
	v_lshlrev_b64 v[1:2], 4, v[1:2]
	s_load_dwordx2 s[4:5], s[4:5], 0x0
	s_waitcnt lgkmcnt(0)
	v_mul_lo_u32 v6, s5, v176
	v_mul_lo_u32 v7, s4, v177
	v_mad_u64_u32 v[4:5], null, s4, v176, 0
	v_add3_u32 v5, v5, v7, v6
	v_mul_u32_u24_e32 v6, 0x5a, v3
	v_lshlrev_b64 v[3:4], 4, v[4:5]
	v_sub_nc_u32_e32 v174, v0, v6
	v_lshlrev_b32_e32 v102, 4, v174
	v_add_co_u32 v0, s0, s8, v3
	v_add_co_ci_u32_e64 v3, s0, s9, v4, s0
	v_add_co_u32 v0, s0, v0, v1
	v_add_co_ci_u32_e64 v1, s0, v3, v2, s0
	;; [unrolled: 2-line block ×3, first 2 shown]
	s_clause 0x1
	global_load_dwordx4 v[2:5], v[50:51], off
	global_load_dwordx4 v[6:9], v[50:51], off offset:1440
	v_add_co_u32 v10, s0, 0x800, v50
	v_add_co_ci_u32_e64 v11, s0, 0, v51, s0
	v_add_co_u32 v18, s0, 0x1000, v50
	v_add_co_ci_u32_e64 v19, s0, 0, v51, s0
	;; [unrolled: 2-line block ×16, first 2 shown]
	s_clause 0x16
	global_load_dwordx4 v[10:13], v[10:11], off offset:832
	global_load_dwordx4 v[14:17], v[18:19], off offset:224
	;; [unrolled: 1-line block ×23, first 2 shown]
	v_add_nc_u32_e32 v102, 0, v102
	v_cmp_eq_u32_e64 s0, 0x59, v174
	s_waitcnt vmcnt(24)
	ds_write_b128 v102, v[2:5]
	s_waitcnt vmcnt(23)
	ds_write_b128 v102, v[6:9] offset:1440
	s_waitcnt vmcnt(22)
	ds_write_b128 v102, v[10:13] offset:2880
	;; [unrolled: 2-line block ×24, first 2 shown]
	s_and_saveexec_b32 s4, s0
	s_cbranch_execz .LBB0_14
; %bb.13:
	v_add_co_u32 v0, s0, 0x8800, v0
	v_add_co_ci_u32_e64 v1, s0, 0, v1, s0
	v_mov_b32_e32 v4, 0
	v_mov_b32_e32 v174, 0x59
	global_load_dwordx4 v[0:3], v[0:1], off offset:1184
	s_waitcnt vmcnt(0)
	ds_write_b128 v4, v[0:3] offset:36000
.LBB0_14:
	s_or_b32 exec_lo, exec_lo, s4
.LBB0_15:
	s_or_b32 exec_lo, exec_lo, s1
	v_lshlrev_b32_e32 v0, 4, v174
	s_waitcnt lgkmcnt(0)
	s_barrier
	buffer_gl0_inv
	s_add_u32 s1, s12, 0x8c00
	v_add_nc_u32_e32 v180, 0, v0
	v_sub_nc_u32_e32 v10, 0, v0
	s_addc_u32 s4, s13, 0
	s_mov_b32 s5, exec_lo
                                        ; implicit-def: $vgpr4_vgpr5
	ds_read_b64 v[6:7], v180
	ds_read_b64 v[8:9], v10 offset:36000
	s_waitcnt lgkmcnt(0)
	v_add_f64 v[0:1], v[6:7], v[8:9]
	v_add_f64 v[2:3], v[6:7], -v[8:9]
	v_cmpx_ne_u32_e32 0, v174
	s_xor_b32 s5, exec_lo, s5
	s_cbranch_execz .LBB0_17
; %bb.16:
	v_mov_b32_e32 v175, 0
	v_add_f64 v[13:14], v[6:7], v[8:9]
	v_add_f64 v[15:16], v[6:7], -v[8:9]
	v_lshlrev_b64 v[0:1], 4, v[174:175]
	v_add_co_u32 v0, s0, s1, v0
	v_add_co_ci_u32_e64 v1, s0, s4, v1, s0
	global_load_dwordx4 v[2:5], v[0:1], off
	ds_read_b64 v[0:1], v10 offset:36008
	ds_read_b64 v[11:12], v180 offset:8
	s_waitcnt lgkmcnt(0)
	v_add_f64 v[6:7], v[0:1], v[11:12]
	v_add_f64 v[0:1], v[11:12], -v[0:1]
	s_waitcnt vmcnt(0)
	v_fma_f64 v[8:9], v[15:16], v[4:5], v[13:14]
	v_fma_f64 v[11:12], -v[15:16], v[4:5], v[13:14]
	v_fma_f64 v[13:14], v[6:7], v[4:5], -v[0:1]
	v_fma_f64 v[4:5], v[6:7], v[4:5], v[0:1]
	v_fma_f64 v[0:1], -v[6:7], v[2:3], v[8:9]
	v_fma_f64 v[6:7], v[6:7], v[2:3], v[11:12]
	v_fma_f64 v[8:9], v[15:16], v[2:3], v[13:14]
	;; [unrolled: 1-line block ×3, first 2 shown]
	v_mov_b32_e32 v4, v174
	v_mov_b32_e32 v5, v175
	ds_write_b128 v10, v[6:9] offset:36000
.LBB0_17:
	s_andn2_saveexec_b32 s0, s5
	s_cbranch_execz .LBB0_19
; %bb.18:
	v_mov_b32_e32 v8, 0
	ds_read_b128 v[4:7], v8 offset:18000
	s_waitcnt lgkmcnt(0)
	v_add_f64 v[11:12], v[4:5], v[4:5]
	v_mul_f64 v[13:14], v[6:7], -2.0
	v_mov_b32_e32 v4, 0
	v_mov_b32_e32 v5, 0
	ds_write_b128 v8, v[11:14] offset:18000
.LBB0_19:
	s_or_b32 exec_lo, exec_lo, s0
	v_lshlrev_b64 v[4:5], 4, v[4:5]
	ds_write_b128 v180, v[0:3]
	v_add_co_u32 v4, s0, s1, v4
	v_add_co_ci_u32_e64 v5, s0, s4, v5, s0
	v_add_co_u32 v11, s0, 0x800, v4
	global_load_dwordx4 v[6:9], v[4:5], off offset:1440
	v_add_co_ci_u32_e64 v12, s0, 0, v5, s0
	v_add_co_u32 v23, s0, 0x1000, v4
	v_add_co_ci_u32_e64 v24, s0, 0, v5, s0
	s_clause 0x1
	global_load_dwordx4 v[11:14], v[11:12], off offset:832
	global_load_dwordx4 v[15:18], v[23:24], off offset:224
	ds_read_b128 v[0:3], v180 offset:1440
	ds_read_b128 v[19:22], v10 offset:34560
	global_load_dwordx4 v[23:26], v[23:24], off offset:1664
	s_waitcnt lgkmcnt(0)
	v_add_f64 v[27:28], v[0:1], v[19:20]
	v_add_f64 v[29:30], v[21:22], v[2:3]
	v_add_f64 v[31:32], v[0:1], -v[19:20]
	v_add_f64 v[0:1], v[2:3], -v[21:22]
	s_waitcnt vmcnt(3)
	v_fma_f64 v[2:3], v[31:32], v[8:9], v[27:28]
	v_fma_f64 v[19:20], v[29:30], v[8:9], v[0:1]
	v_fma_f64 v[21:22], -v[31:32], v[8:9], v[27:28]
	v_fma_f64 v[8:9], v[29:30], v[8:9], -v[0:1]
	v_add_co_u32 v27, s0, 0x1800, v4
	v_add_co_ci_u32_e64 v28, s0, 0, v5, s0
	v_fma_f64 v[0:1], -v[29:30], v[6:7], v[2:3]
	v_fma_f64 v[2:3], v[31:32], v[6:7], v[19:20]
	v_fma_f64 v[19:20], v[29:30], v[6:7], v[21:22]
	;; [unrolled: 1-line block ×3, first 2 shown]
	ds_write_b128 v180, v[0:3] offset:1440
	ds_write_b128 v10, v[19:22] offset:34560
	ds_read_b128 v[0:3], v180 offset:2880
	ds_read_b128 v[6:9], v10 offset:33120
	global_load_dwordx4 v[19:22], v[27:28], off offset:1056
	s_waitcnt lgkmcnt(0)
	v_add_f64 v[27:28], v[0:1], v[6:7]
	v_add_f64 v[29:30], v[8:9], v[2:3]
	v_add_f64 v[31:32], v[0:1], -v[6:7]
	v_add_f64 v[0:1], v[2:3], -v[8:9]
	s_waitcnt vmcnt(3)
	v_fma_f64 v[2:3], v[31:32], v[13:14], v[27:28]
	v_fma_f64 v[6:7], v[29:30], v[13:14], v[0:1]
	v_fma_f64 v[8:9], -v[31:32], v[13:14], v[27:28]
	v_fma_f64 v[13:14], v[29:30], v[13:14], -v[0:1]
	v_add_co_u32 v27, s0, 0x2000, v4
	v_add_co_ci_u32_e64 v28, s0, 0, v5, s0
	v_fma_f64 v[0:1], -v[29:30], v[11:12], v[2:3]
	v_fma_f64 v[2:3], v[31:32], v[11:12], v[6:7]
	v_fma_f64 v[6:7], v[29:30], v[11:12], v[8:9]
	v_fma_f64 v[8:9], v[31:32], v[11:12], v[13:14]
	ds_write_b128 v180, v[0:3] offset:2880
	ds_write_b128 v10, v[6:9] offset:33120
	ds_read_b128 v[0:3], v180 offset:4320
	ds_read_b128 v[6:9], v10 offset:31680
	global_load_dwordx4 v[11:14], v[27:28], off offset:448
	s_waitcnt lgkmcnt(0)
	v_add_f64 v[29:30], v[0:1], v[6:7]
	v_add_f64 v[31:32], v[8:9], v[2:3]
	v_add_f64 v[33:34], v[0:1], -v[6:7]
	v_add_f64 v[0:1], v[2:3], -v[8:9]
	s_waitcnt vmcnt(3)
	v_fma_f64 v[2:3], v[33:34], v[17:18], v[29:30]
	v_fma_f64 v[6:7], v[31:32], v[17:18], v[0:1]
	v_fma_f64 v[8:9], -v[33:34], v[17:18], v[29:30]
	v_fma_f64 v[17:18], v[31:32], v[17:18], -v[0:1]
	v_fma_f64 v[0:1], -v[31:32], v[15:16], v[2:3]
	v_fma_f64 v[2:3], v[33:34], v[15:16], v[6:7]
	v_fma_f64 v[6:7], v[31:32], v[15:16], v[8:9]
	;; [unrolled: 1-line block ×3, first 2 shown]
	ds_write_b128 v180, v[0:3] offset:4320
	ds_write_b128 v10, v[6:9] offset:31680
	ds_read_b128 v[0:3], v180 offset:5760
	ds_read_b128 v[6:9], v10 offset:30240
	global_load_dwordx4 v[15:18], v[27:28], off offset:1888
	s_waitcnt lgkmcnt(0)
	v_add_f64 v[27:28], v[0:1], v[6:7]
	v_add_f64 v[29:30], v[8:9], v[2:3]
	v_add_f64 v[31:32], v[0:1], -v[6:7]
	v_add_f64 v[0:1], v[2:3], -v[8:9]
	s_waitcnt vmcnt(3)
	v_fma_f64 v[2:3], v[31:32], v[25:26], v[27:28]
	v_fma_f64 v[6:7], v[29:30], v[25:26], v[0:1]
	v_fma_f64 v[8:9], -v[31:32], v[25:26], v[27:28]
	v_fma_f64 v[25:26], v[29:30], v[25:26], -v[0:1]
	v_fma_f64 v[0:1], -v[29:30], v[23:24], v[2:3]
	v_fma_f64 v[2:3], v[31:32], v[23:24], v[6:7]
	v_fma_f64 v[6:7], v[29:30], v[23:24], v[8:9]
	;; [unrolled: 1-line block ×3, first 2 shown]
	v_add_co_u32 v23, s0, 0x2800, v4
	v_add_co_ci_u32_e64 v24, s0, 0, v5, s0
	ds_write_b128 v180, v[0:3] offset:5760
	ds_write_b128 v10, v[6:9] offset:30240
	ds_read_b128 v[0:3], v180 offset:7200
	ds_read_b128 v[6:9], v10 offset:28800
	global_load_dwordx4 v[23:26], v[23:24], off offset:1280
	s_waitcnt lgkmcnt(0)
	v_add_f64 v[27:28], v[0:1], v[6:7]
	v_add_f64 v[29:30], v[8:9], v[2:3]
	v_add_f64 v[31:32], v[0:1], -v[6:7]
	v_add_f64 v[0:1], v[2:3], -v[8:9]
	s_waitcnt vmcnt(3)
	v_fma_f64 v[2:3], v[31:32], v[21:22], v[27:28]
	v_fma_f64 v[6:7], v[29:30], v[21:22], v[0:1]
	v_fma_f64 v[8:9], -v[31:32], v[21:22], v[27:28]
	v_fma_f64 v[21:22], v[29:30], v[21:22], -v[0:1]
	v_fma_f64 v[0:1], -v[29:30], v[19:20], v[2:3]
	v_fma_f64 v[2:3], v[31:32], v[19:20], v[6:7]
	v_fma_f64 v[6:7], v[29:30], v[19:20], v[8:9]
	;; [unrolled: 1-line block ×3, first 2 shown]
	v_add_co_u32 v19, s0, 0x3000, v4
	v_add_co_ci_u32_e64 v20, s0, 0, v5, s0
	ds_write_b128 v180, v[0:3] offset:7200
	ds_write_b128 v10, v[6:9] offset:28800
	ds_read_b128 v[0:3], v180 offset:8640
	ds_read_b128 v[6:9], v10 offset:27360
	global_load_dwordx4 v[19:22], v[19:20], off offset:672
	s_waitcnt lgkmcnt(0)
	v_add_f64 v[27:28], v[0:1], v[6:7]
	v_add_f64 v[29:30], v[8:9], v[2:3]
	v_add_f64 v[31:32], v[0:1], -v[6:7]
	v_add_f64 v[0:1], v[2:3], -v[8:9]
	s_waitcnt vmcnt(3)
	v_fma_f64 v[2:3], v[31:32], v[13:14], v[27:28]
	v_fma_f64 v[6:7], v[29:30], v[13:14], v[0:1]
	v_fma_f64 v[8:9], -v[31:32], v[13:14], v[27:28]
	v_fma_f64 v[13:14], v[29:30], v[13:14], -v[0:1]
	v_add_co_u32 v27, s0, 0x3800, v4
	v_add_co_ci_u32_e64 v28, s0, 0, v5, s0
	v_cmp_gt_u32_e64 s0, 45, v174
	v_fma_f64 v[0:1], -v[29:30], v[11:12], v[2:3]
	v_fma_f64 v[2:3], v[31:32], v[11:12], v[6:7]
	v_fma_f64 v[6:7], v[29:30], v[11:12], v[8:9]
	;; [unrolled: 1-line block ×3, first 2 shown]
	ds_write_b128 v180, v[0:3] offset:8640
	ds_write_b128 v10, v[6:9] offset:27360
	ds_read_b128 v[0:3], v180 offset:10080
	ds_read_b128 v[6:9], v10 offset:25920
	global_load_dwordx4 v[11:14], v[27:28], off offset:64
	s_waitcnt lgkmcnt(0)
	v_add_f64 v[29:30], v[0:1], v[6:7]
	v_add_f64 v[31:32], v[8:9], v[2:3]
	v_add_f64 v[33:34], v[0:1], -v[6:7]
	v_add_f64 v[0:1], v[2:3], -v[8:9]
	s_waitcnt vmcnt(3)
	v_fma_f64 v[2:3], v[33:34], v[17:18], v[29:30]
	v_fma_f64 v[6:7], v[31:32], v[17:18], v[0:1]
	v_fma_f64 v[8:9], -v[33:34], v[17:18], v[29:30]
	v_fma_f64 v[17:18], v[31:32], v[17:18], -v[0:1]
	v_fma_f64 v[0:1], -v[31:32], v[15:16], v[2:3]
	v_fma_f64 v[2:3], v[33:34], v[15:16], v[6:7]
	v_fma_f64 v[6:7], v[31:32], v[15:16], v[8:9]
	;; [unrolled: 1-line block ×3, first 2 shown]
	ds_write_b128 v180, v[0:3] offset:10080
	ds_write_b128 v10, v[6:9] offset:25920
	ds_read_b128 v[0:3], v180 offset:11520
	ds_read_b128 v[6:9], v10 offset:24480
	global_load_dwordx4 v[15:18], v[27:28], off offset:1504
	s_waitcnt lgkmcnt(0)
	v_add_f64 v[27:28], v[0:1], v[6:7]
	v_add_f64 v[29:30], v[8:9], v[2:3]
	v_add_f64 v[31:32], v[0:1], -v[6:7]
	v_add_f64 v[0:1], v[2:3], -v[8:9]
	s_waitcnt vmcnt(3)
	v_fma_f64 v[2:3], v[31:32], v[25:26], v[27:28]
	v_fma_f64 v[6:7], v[29:30], v[25:26], v[0:1]
	v_fma_f64 v[8:9], -v[31:32], v[25:26], v[27:28]
	v_fma_f64 v[25:26], v[29:30], v[25:26], -v[0:1]
	v_fma_f64 v[0:1], -v[29:30], v[23:24], v[2:3]
	v_fma_f64 v[2:3], v[31:32], v[23:24], v[6:7]
	v_fma_f64 v[6:7], v[29:30], v[23:24], v[8:9]
	v_fma_f64 v[8:9], v[31:32], v[23:24], v[25:26]
	ds_write_b128 v180, v[0:3] offset:11520
	ds_write_b128 v10, v[6:9] offset:24480
	ds_read_b128 v[0:3], v180 offset:12960
	ds_read_b128 v[6:9], v10 offset:23040
	s_waitcnt lgkmcnt(0)
	v_add_f64 v[23:24], v[0:1], v[6:7]
	v_add_f64 v[25:26], v[8:9], v[2:3]
	v_add_f64 v[27:28], v[0:1], -v[6:7]
	v_add_f64 v[0:1], v[2:3], -v[8:9]
	s_waitcnt vmcnt(2)
	v_fma_f64 v[2:3], v[27:28], v[21:22], v[23:24]
	v_fma_f64 v[6:7], v[25:26], v[21:22], v[0:1]
	v_fma_f64 v[8:9], -v[27:28], v[21:22], v[23:24]
	v_fma_f64 v[21:22], v[25:26], v[21:22], -v[0:1]
	v_fma_f64 v[0:1], -v[25:26], v[19:20], v[2:3]
	v_fma_f64 v[2:3], v[27:28], v[19:20], v[6:7]
	v_fma_f64 v[6:7], v[25:26], v[19:20], v[8:9]
	v_fma_f64 v[8:9], v[27:28], v[19:20], v[21:22]
	ds_write_b128 v180, v[0:3] offset:12960
	ds_write_b128 v10, v[6:9] offset:23040
	ds_read_b128 v[0:3], v180 offset:14400
	ds_read_b128 v[6:9], v10 offset:21600
	;; [unrolled: 18-line block ×3, first 2 shown]
	s_waitcnt lgkmcnt(0)
	v_add_f64 v[11:12], v[0:1], v[6:7]
	v_add_f64 v[13:14], v[8:9], v[2:3]
	v_add_f64 v[19:20], v[0:1], -v[6:7]
	v_add_f64 v[0:1], v[2:3], -v[8:9]
	s_waitcnt vmcnt(0)
	v_fma_f64 v[2:3], v[19:20], v[17:18], v[11:12]
	v_fma_f64 v[6:7], v[13:14], v[17:18], v[0:1]
	v_fma_f64 v[8:9], -v[19:20], v[17:18], v[11:12]
	v_fma_f64 v[11:12], v[13:14], v[17:18], -v[0:1]
	v_fma_f64 v[0:1], -v[13:14], v[15:16], v[2:3]
	v_fma_f64 v[2:3], v[19:20], v[15:16], v[6:7]
	v_fma_f64 v[6:7], v[13:14], v[15:16], v[8:9]
	;; [unrolled: 1-line block ×3, first 2 shown]
	ds_write_b128 v180, v[0:3] offset:15840
	ds_write_b128 v10, v[6:9] offset:20160
	s_and_saveexec_b32 s4, s0
	s_cbranch_execz .LBB0_21
; %bb.20:
	v_add_co_u32 v0, s1, 0x4000, v4
	v_add_co_ci_u32_e64 v1, s1, 0, v5, s1
	global_load_dwordx4 v[0:3], v[0:1], off offset:896
	ds_read_b128 v[4:7], v180 offset:17280
	ds_read_b128 v[11:14], v10 offset:18720
	s_waitcnt lgkmcnt(0)
	v_add_f64 v[8:9], v[4:5], v[11:12]
	v_add_f64 v[15:16], v[13:14], v[6:7]
	v_add_f64 v[11:12], v[4:5], -v[11:12]
	v_add_f64 v[4:5], v[6:7], -v[13:14]
	s_waitcnt vmcnt(0)
	v_fma_f64 v[6:7], v[11:12], v[2:3], v[8:9]
	v_fma_f64 v[13:14], v[15:16], v[2:3], v[4:5]
	v_fma_f64 v[8:9], -v[11:12], v[2:3], v[8:9]
	v_fma_f64 v[17:18], v[15:16], v[2:3], -v[4:5]
	v_fma_f64 v[2:3], -v[15:16], v[0:1], v[6:7]
	v_fma_f64 v[4:5], v[11:12], v[0:1], v[13:14]
	v_fma_f64 v[6:7], v[15:16], v[0:1], v[8:9]
	;; [unrolled: 1-line block ×3, first 2 shown]
	ds_write_b128 v180, v[2:5] offset:17280
	ds_write_b128 v10, v[6:9] offset:18720
.LBB0_21:
	s_or_b32 exec_lo, exec_lo, s4
	s_waitcnt lgkmcnt(0)
	s_barrier
	buffer_gl0_inv
	s_barrier
	buffer_gl0_inv
	ds_read_b128 v[44:47], v180 offset:18000
	ds_read_b128 v[48:51], v180 offset:25200
	;; [unrolled: 1-line block ×4, first 2 shown]
	ds_read_b128 v[76:79], v180
	ds_read_b128 v[8:11], v180 offset:1440
	ds_read_b128 v[64:67], v180 offset:7200
	;; [unrolled: 1-line block ×14, first 2 shown]
	s_mov_b32 s4, 0x134454ff
	s_mov_b32 s5, 0xbfee6f0e
	;; [unrolled: 1-line block ×7, first 2 shown]
	s_waitcnt lgkmcnt(17)
	v_add_f64 v[40:41], v[46:47], v[50:51]
	v_add_f64 v[42:43], v[44:45], v[48:49]
	s_waitcnt lgkmcnt(15)
	v_add_f64 v[84:85], v[62:63], v[54:55]
	v_add_f64 v[86:87], v[62:63], -v[54:55]
	v_add_f64 v[92:93], v[60:61], -v[52:53]
	;; [unrolled: 1-line block ×3, first 2 shown]
	v_add_f64 v[104:105], v[60:61], v[52:53]
	s_waitcnt lgkmcnt(12)
	v_add_f64 v[106:107], v[76:77], v[64:65]
	s_waitcnt lgkmcnt(5)
	v_add_f64 v[110:111], v[72:73], v[68:69]
	v_add_f64 v[116:117], v[74:75], v[70:71]
	s_waitcnt lgkmcnt(3)
	v_add_f64 v[118:119], v[64:65], v[56:57]
	v_add_f64 v[120:121], v[46:47], -v[50:51]
	v_add_f64 v[122:123], v[60:61], -v[44:45]
	v_add_f64 v[124:125], v[52:53], -v[48:49]
	v_add_f64 v[126:127], v[62:63], -v[46:47]
	v_add_f64 v[128:129], v[54:55], -v[50:51]
	v_add_f64 v[134:135], v[66:67], v[58:59]
	v_add_f64 v[136:137], v[46:47], -v[62:63]
	v_add_f64 v[138:139], v[50:51], -v[54:55]
	s_mov_b32 s18, s16
	v_add_f64 v[108:109], v[78:79], v[66:67]
	v_add_f64 v[140:141], v[74:75], -v[70:71]
	v_fma_f64 v[94:95], v[40:41], -0.5, v[82:83]
	v_fma_f64 v[112:113], v[42:43], -0.5, v[80:81]
	;; [unrolled: 1-line block ×3, first 2 shown]
	v_add_f64 v[142:143], v[64:65], -v[72:73]
	v_add_f64 v[144:145], v[72:73], -v[64:65]
	;; [unrolled: 1-line block ×3, first 2 shown]
	v_fma_f64 v[104:105], v[104:105], -0.5, v[80:81]
	v_add_f64 v[148:149], v[66:67], -v[58:59]
	v_add_f64 v[152:153], v[64:65], -v[56:57]
	v_add_f64 v[64:65], v[80:81], v[60:61]
	v_add_f64 v[62:63], v[82:83], v[62:63]
	v_add_f64 v[60:61], v[44:45], -v[60:61]
	v_fma_f64 v[154:155], v[110:111], -0.5, v[76:77]
	v_fma_f64 v[76:77], v[118:119], -0.5, v[76:77]
	;; [unrolled: 1-line block ×3, first 2 shown]
	v_add_f64 v[118:119], v[122:123], v[124:125]
	v_add_f64 v[122:123], v[126:127], v[128:129]
	v_fma_f64 v[78:79], v[134:135], -0.5, v[78:79]
	v_add_f64 v[110:111], v[48:49], -v[52:53]
	v_add_f64 v[124:125], v[66:67], -v[74:75]
	;; [unrolled: 1-line block ×3, first 2 shown]
	v_add_f64 v[72:73], v[106:107], v[72:73]
	v_fma_f64 v[130:131], v[92:93], s[8:9], v[94:95]
	v_fma_f64 v[132:133], v[86:87], s[4:5], v[112:113]
	;; [unrolled: 1-line block ×4, first 2 shown]
	s_mov_b32 s6, 0x372fe950
	s_mov_b32 s7, 0x3fd3c6ef
	v_add_f64 v[126:127], v[56:57], -v[68:69]
	v_add_f64 v[108:109], v[108:109], v[74:75]
	v_add_f64 v[66:67], v[74:75], -v[66:67]
	v_add_f64 v[64:65], v[64:65], v[44:45]
	v_add_f64 v[62:63], v[62:63], v[46:47]
	v_add_f64 v[74:75], v[70:71], -v[58:59]
	ds_read_b128 v[28:31], v180 offset:31680
	v_fma_f64 v[158:159], v[140:141], s[8:9], v[76:77]
	v_fma_f64 v[156:157], v[152:153], s[8:9], v[116:117]
	ds_read_b128 v[88:91], v180 offset:5040
	ds_read_b128 v[96:99], v180 offset:33840
	;; [unrolled: 1-line block ×4, first 2 shown]
	s_mov_b32 s20, 0x9b97f4a8
	v_fma_f64 v[160:161], v[146:147], s[4:5], v[78:79]
	v_add_f64 v[60:61], v[60:61], v[110:111]
	s_mov_b32 s21, 0x3fe9e377
	v_add_f64 v[124:125], v[124:125], v[128:129]
	s_mov_b32 s15, 0xbfd3c6ef
	v_fma_f64 v[82:83], v[114:115], s[18:19], v[130:131]
	v_fma_f64 v[84:85], v[120:121], s[16:17], v[132:133]
	v_add_f64 v[130:131], v[136:137], v[138:139]
	v_fma_f64 v[132:133], v[120:121], s[8:9], v[104:105]
	v_fma_f64 v[134:135], v[92:93], s[18:19], v[150:151]
	v_add_f64 v[136:137], v[68:69], -v[56:57]
	v_fma_f64 v[138:139], v[148:149], s[4:5], v[154:155]
	v_fma_f64 v[150:151], v[120:121], s[4:5], v[104:105]
	v_fma_f64 v[80:81], v[92:93], s[16:17], v[80:81]
	v_add_f64 v[68:69], v[72:73], v[68:69]
	ds_read_b128 v[104:107], v180 offset:26640
	ds_read_b128 v[44:47], v180 offset:28080
	v_add_f64 v[126:127], v[142:143], v[126:127]
	v_add_f64 v[70:71], v[108:109], v[70:71]
	;; [unrolled: 1-line block ×4, first 2 shown]
	v_fma_f64 v[62:63], v[140:141], s[4:5], v[76:77]
	v_fma_f64 v[64:65], v[146:147], s[8:9], v[78:79]
	v_add_f64 v[74:75], v[66:67], v[74:75]
	ds_read_b128 v[108:111], v180 offset:12240
	s_mov_b32 s14, s6
	v_fma_f64 v[92:93], v[92:93], s[4:5], v[94:95]
	v_add_f64 v[191:192], v[38:39], v[2:3]
	v_fma_f64 v[82:83], v[122:123], s[6:7], v[82:83]
	v_fma_f64 v[84:85], v[118:119], s[6:7], v[84:85]
	v_add_f64 v[189:190], v[36:37], v[0:1]
	v_fma_f64 v[72:73], v[86:87], s[16:17], v[132:133]
	;; [unrolled: 3-line block ×3, first 2 shown]
	v_fma_f64 v[78:79], v[86:87], s[18:19], v[150:151]
	v_fma_f64 v[134:135], v[146:147], s[18:19], v[156:157]
	;; [unrolled: 1-line block ×5, first 2 shown]
	s_waitcnt lgkmcnt(2)
	v_add_f64 v[142:143], v[100:101], v[104:105]
	v_add_f64 v[144:145], v[102:103], v[106:107]
	;; [unrolled: 1-line block ×6, first 2 shown]
	v_fma_f64 v[160:161], v[148:149], s[18:19], v[62:63]
	v_fma_f64 v[162:163], v[152:153], s[16:17], v[64:65]
	s_waitcnt lgkmcnt(0)
	v_add_f64 v[166:167], v[110:111], -v[98:99]
	v_add_f64 v[168:169], v[108:109], -v[96:97]
	v_mul_f64 v[66:67], v[82:83], s[16:17]
	v_mul_f64 v[130:131], v[84:85], s[18:19]
	v_add_f64 v[94:95], v[102:103], -v[106:107]
	v_fma_f64 v[72:73], v[60:61], s[6:7], v[72:73]
	v_mul_f64 v[150:151], v[128:129], s[4:5]
	v_mul_f64 v[128:129], v[128:129], s[6:7]
	v_fma_f64 v[76:77], v[126:127], s[6:7], v[76:77]
	v_fma_f64 v[78:79], v[60:61], s[6:7], v[78:79]
	;; [unrolled: 1-line block ×3, first 2 shown]
	v_mul_f64 v[164:165], v[80:81], s[4:5]
	v_mul_f64 v[80:81], v[80:81], s[14:15]
	v_add_f64 v[181:182], v[96:97], -v[104:105]
	v_fma_f64 v[178:179], v[142:143], -0.5, v[88:89]
	v_fma_f64 v[170:171], v[144:145], -0.5, v[90:91]
	v_add_f64 v[142:143], v[8:9], v[32:33]
	v_add_f64 v[144:145], v[10:11], v[34:35]
	;; [unrolled: 1-line block ×3, first 2 shown]
	v_add_f64 v[60:61], v[68:69], -v[156:157]
	v_add_f64 v[62:63], v[70:71], -v[158:159]
	v_fma_f64 v[156:157], v[74:75], s[6:7], v[162:163]
	v_add_f64 v[162:163], v[100:101], -v[104:105]
	v_add_f64 v[183:184], v[98:99], -v[106:107]
	v_fma_f64 v[84:85], v[84:85], s[20:21], v[66:67]
	v_fma_f64 v[82:83], v[82:83], s[20:21], v[130:131]
	;; [unrolled: 1-line block ×6, first 2 shown]
	v_add_f64 v[66:67], v[70:71], v[158:159]
	v_fma_f64 v[132:133], v[132:133], s[6:7], v[160:161]
	v_add_f64 v[160:161], v[108:109], -v[100:101]
	v_fma_f64 v[150:151], v[78:79], s[14:15], v[164:165]
	v_fma_f64 v[158:159], v[78:79], s[8:9], v[80:81]
	v_add_f64 v[164:165], v[110:111], -v[102:103]
	v_fma_f64 v[187:188], v[166:167], s[4:5], v[178:179]
	v_fma_f64 v[185:186], v[168:169], s[8:9], v[170:171]
	;; [unrolled: 1-line block ×4, first 2 shown]
	v_add_f64 v[195:196], v[32:33], -v[4:5]
	v_fma_f64 v[148:149], v[148:149], s[8:9], v[154:155]
	v_fma_f64 v[154:155], v[191:192], -0.5, v[10:11]
	v_fma_f64 v[116:117], v[152:153], s[4:5], v[116:117]
	v_add_f64 v[152:153], v[108:109], v[96:97]
	v_add_f64 v[193:194], v[34:35], -v[6:7]
	v_add_f64 v[68:69], v[76:77], v[84:85]
	v_add_f64 v[70:71], v[134:135], v[82:83]
	v_add_f64 v[72:73], v[76:77], -v[84:85]
	v_add_f64 v[74:75], v[134:135], -v[82:83]
	v_add_f64 v[80:81], v[130:131], v[138:139]
	v_add_f64 v[134:135], v[110:111], v[98:99]
	;; [unrolled: 1-line block ×3, first 2 shown]
	v_add_f64 v[76:77], v[130:131], -v[138:139]
	v_add_f64 v[78:79], v[136:137], -v[128:129]
	v_add_f64 v[128:129], v[88:89], v[108:109]
	v_add_f64 v[130:131], v[90:91], v[110:111]
	v_add_f64 v[92:93], v[160:161], v[181:182]
	v_add_f64 v[160:161], v[164:165], v[183:184]
	v_fma_f64 v[136:137], v[162:163], s[18:19], v[185:186]
	v_fma_f64 v[138:139], v[94:95], s[16:17], v[187:188]
	v_fma_f64 v[164:165], v[189:190], -0.5, v[8:9]
	v_fma_f64 v[112:113], v[120:121], s[18:19], v[112:113]
	v_add_f64 v[120:121], v[142:143], v[36:37]
	v_fma_f64 v[114:115], v[122:123], s[6:7], v[114:115]
	v_add_f64 v[181:182], v[36:37], -v[0:1]
	v_add_f64 v[183:184], v[4:5], -v[0:1]
	;; [unrolled: 1-line block ×3, first 2 shown]
	v_fma_f64 v[140:141], v[140:141], s[18:19], v[148:149]
	v_fma_f64 v[148:149], v[195:196], s[8:9], v[154:155]
	v_fma_f64 v[116:117], v[146:147], s[16:17], v[116:117]
	v_fma_f64 v[146:147], v[152:153], -0.5, v[88:89]
	s_mov_b32 s23, 0xbfe9e377
	v_fma_f64 v[142:143], v[134:135], -0.5, v[90:91]
	v_add_f64 v[90:91], v[144:145], v[38:39]
	v_add_f64 v[134:135], v[32:33], -v[36:37]
	v_add_f64 v[144:145], v[34:35], -v[38:39]
	v_add_f64 v[128:129], v[128:129], v[100:101]
	v_add_f64 v[130:131], v[130:131], v[102:103]
	s_mov_b32 s22, s20
	v_add_f64 v[122:123], v[38:39], -v[2:3]
	v_add_f64 v[102:103], v[102:103], -v[110:111]
	;; [unrolled: 1-line block ×3, first 2 shown]
	v_fma_f64 v[136:137], v[160:161], s[6:7], v[136:137]
	v_fma_f64 v[138:139], v[92:93], s[6:7], v[138:139]
	;; [unrolled: 1-line block ×4, first 2 shown]
	v_mul_f64 v[152:153], v[114:115], s[16:17]
	v_mul_f64 v[114:115], v[114:115], s[22:23]
	v_add_f64 v[120:121], v[120:121], v[0:1]
	v_add_f64 v[100:101], v[100:101], -v[108:109]
	v_add_f64 v[84:85], v[132:133], v[150:151]
	v_add_f64 v[189:190], v[32:33], v[4:5]
	v_add_f64 v[88:89], v[132:133], -v[150:151]
	v_fma_f64 v[116:117], v[124:125], s[6:7], v[116:117]
	v_fma_f64 v[118:119], v[162:163], s[4:5], v[142:143]
	v_add_f64 v[90:91], v[90:91], v[2:3]
	v_add_f64 v[108:109], v[134:135], v[183:184]
	;; [unrolled: 1-line block ×6, first 2 shown]
	v_fma_f64 v[144:145], v[181:182], s[18:19], v[148:149]
	v_add_f64 v[104:105], v[104:105], -v[96:97]
	v_fma_f64 v[148:149], v[94:95], s[8:9], v[146:147]
	v_mul_f64 v[132:133], v[136:137], s[16:17]
	v_mul_f64 v[134:135], v[138:139], s[18:19]
	v_fma_f64 v[150:151], v[122:123], s[16:17], v[187:188]
	v_add_f64 v[102:103], v[102:103], v[110:111]
	v_add_f64 v[36:37], v[36:37], -v[32:33]
	v_add_f64 v[38:39], v[38:39], -v[34:35]
	v_add_f64 v[32:33], v[42:43], v[46:47]
	ds_read_b128 v[48:51], v180 offset:13680
	ds_read_b128 v[52:55], v180 offset:35280
	;; [unrolled: 1-line block ×3, first 2 shown]
	v_add_f64 v[86:87], v[156:157], v[158:159]
	v_fma_f64 v[140:141], v[126:127], s[6:7], v[140:141]
	v_add_f64 v[0:1], v[0:1], -v[4:5]
	v_fma_f64 v[110:111], v[168:169], s[18:19], v[118:119]
	v_fma_f64 v[118:119], v[112:113], s[22:23], v[152:153]
	;; [unrolled: 1-line block ×3, first 2 shown]
	v_add_f64 v[114:115], v[120:121], v[4:5]
	v_add_f64 v[96:97], v[128:129], v[96:97]
	;; [unrolled: 1-line block ×3, first 2 shown]
	v_fma_f64 v[10:11], v[130:131], -0.5, v[10:11]
	v_add_f64 v[98:99], v[106:107], v[98:99]
	v_add_f64 v[100:101], v[100:101], v[104:105]
	v_fma_f64 v[34:35], v[166:167], s[16:17], v[148:149]
	v_add_f64 v[104:105], v[40:41], v[44:45]
	v_add_f64 v[90:91], v[156:157], -v[158:159]
	v_fma_f64 v[106:107], v[138:139], s[20:21], v[132:133]
	v_fma_f64 v[152:153], v[136:137], s[20:21], v[134:135]
	;; [unrolled: 1-line block ×4, first 2 shown]
	v_add_f64 v[2:3], v[2:3], -v[6:7]
	v_fma_f64 v[8:9], v[189:190], -0.5, v[8:9]
	v_add_f64 v[158:159], v[12:13], v[16:17]
	v_fma_f64 v[178:179], v[166:167], s[8:9], v[178:179]
	s_waitcnt lgkmcnt(0)
	v_add_f64 v[187:188], v[58:59], v[50:51]
	v_add_f64 v[0:1], v[36:37], v[0:1]
	v_fma_f64 v[4:5], v[102:103], s[6:7], v[110:111]
	v_fma_f64 v[110:111], v[162:163], s[8:9], v[142:143]
	v_add_f64 v[127:128], v[116:117], v[112:113]
	v_add_f64 v[131:132], v[116:117], -v[112:113]
	v_add_f64 v[133:134], v[114:115], v[96:97]
	v_add_f64 v[137:138], v[114:115], -v[96:97]
	v_fma_f64 v[96:97], v[181:182], s[4:5], v[10:11]
	v_fma_f64 v[112:113], v[32:33], -0.5, v[58:59]
	v_add_f64 v[32:33], v[48:49], -v[52:53]
	v_fma_f64 v[114:115], v[100:101], s[6:7], v[34:35]
	v_fma_f64 v[104:105], v[104:105], -0.5, v[56:57]
	v_add_f64 v[34:35], v[50:51], -v[54:55]
	v_add_f64 v[125:126], v[140:141], v[118:119]
	v_add_f64 v[129:130], v[140:141], -v[118:119]
	v_add_f64 v[135:136], v[120:121], v[98:99]
	;; [unrolled: 2-line block ×3, first 2 shown]
	v_add_f64 v[143:144], v[156:157], v[152:153]
	v_fma_f64 v[116:117], v[94:95], s[4:5], v[146:147]
	v_fma_f64 v[120:121], v[168:169], s[4:5], v[170:171]
	v_add_f64 v[145:146], v[150:151], -v[106:107]
	v_add_f64 v[147:148], v[156:157], -v[152:153]
	v_mul_f64 v[118:119], v[4:5], s[4:5]
	v_mul_f64 v[4:5], v[4:5], s[6:7]
	v_add_f64 v[2:3], v[38:39], v[2:3]
	v_add_f64 v[38:39], v[14:15], v[18:19]
	v_fma_f64 v[106:107], v[168:169], s[16:17], v[110:111]
	v_add_f64 v[110:111], v[50:51], -v[42:43]
	v_add_f64 v[149:150], v[54:55], -v[46:47]
	;; [unrolled: 1-line block ×3, first 2 shown]
	v_fma_f64 v[151:152], v[32:33], s[4:5], v[112:113]
	v_fma_f64 v[112:113], v[32:33], s[8:9], v[112:113]
	;; [unrolled: 1-line block ×3, first 2 shown]
	v_add_f64 v[168:169], v[48:49], -v[40:41]
	v_add_f64 v[170:171], v[52:53], -v[44:45]
	v_fma_f64 v[185:186], v[34:35], s[4:5], v[104:105]
	v_add_f64 v[96:97], v[42:43], -v[46:47]
	v_fma_f64 v[6:7], v[122:123], s[8:9], v[8:9]
	v_fma_f64 v[8:9], v[122:123], s[4:5], v[8:9]
	v_fma_f64 v[10:11], v[181:182], s[8:9], v[10:11]
	v_fma_f64 v[158:159], v[158:159], -0.5, v[24:25]
	v_fma_f64 v[120:121], v[162:163], s[16:17], v[120:121]
	v_add_f64 v[36:37], v[22:23], -v[30:31]
	v_fma_f64 v[116:117], v[166:167], s[18:19], v[116:117]
	v_fma_f64 v[162:163], v[114:115], s[6:7], v[118:119]
	;; [unrolled: 1-line block ×4, first 2 shown]
	v_fma_f64 v[118:119], v[38:39], -0.5, v[26:27]
	v_add_f64 v[38:39], v[20:21], -v[28:29]
	v_fma_f64 v[102:103], v[102:103], s[6:7], v[106:107]
	v_add_f64 v[106:107], v[110:111], v[149:150]
	v_fma_f64 v[104:105], v[34:35], s[8:9], v[104:105]
	v_fma_f64 v[149:150], v[98:99], s[16:17], v[151:152]
	;; [unrolled: 1-line block ×3, first 2 shown]
	v_add_f64 v[151:152], v[24:25], v[20:21]
	v_add_f64 v[164:165], v[26:27], v[22:23]
	;; [unrolled: 1-line block ×4, first 2 shown]
	v_fma_f64 v[170:171], v[96:97], s[16:17], v[185:186]
	v_fma_f64 v[6:7], v[193:194], s[16:17], v[6:7]
	;; [unrolled: 1-line block ×8, first 2 shown]
	v_add_f64 v[94:95], v[14:15], -v[18:19]
	v_add_f64 v[185:186], v[20:21], -v[12:13]
	;; [unrolled: 1-line block ×3, first 2 shown]
	v_fma_f64 v[158:159], v[36:37], s[8:9], v[158:159]
	v_add_f64 v[191:192], v[22:23], -v[14:15]
	v_add_f64 v[193:194], v[30:31], -v[18:19]
	v_fma_f64 v[195:196], v[38:39], s[8:9], v[118:119]
	v_add_f64 v[110:111], v[12:13], -v[16:17]
	v_fma_f64 v[118:119], v[38:39], s[4:5], v[118:119]
	v_fma_f64 v[104:105], v[96:97], s[18:19], v[104:105]
	;; [unrolled: 1-line block ×4, first 2 shown]
	v_add_f64 v[116:117], v[151:152], v[12:13]
	v_add_f64 v[151:152], v[164:165], v[14:15]
	;; [unrolled: 1-line block ×4, first 2 shown]
	v_fma_f64 v[187:188], v[106:107], s[6:7], v[112:113]
	v_fma_f64 v[170:171], v[168:169], s[6:7], v[170:171]
	;; [unrolled: 1-line block ×3, first 2 shown]
	v_mul_f64 v[114:115], v[102:103], s[4:5]
	v_fma_f64 v[112:113], v[181:182], s[16:17], v[153:154]
	v_mul_f64 v[102:103], v[102:103], s[14:15]
	v_fma_f64 v[92:93], v[92:93], s[6:7], v[178:179]
	v_mul_f64 v[122:123], v[120:121], s[16:17]
	v_mul_f64 v[120:121], v[120:121], s[22:23]
	v_fma_f64 v[153:154], v[94:95], s[16:17], v[160:161]
	v_add_f64 v[160:161], v[185:186], v[189:190]
	v_fma_f64 v[158:159], v[94:95], s[18:19], v[158:159]
	v_add_f64 v[178:179], v[191:192], v[193:194]
	v_fma_f64 v[181:182], v[110:111], s[18:19], v[195:196]
	v_fma_f64 v[118:119], v[110:111], s[16:17], v[118:119]
	;; [unrolled: 1-line block ×3, first 2 shown]
	v_mul_f64 v[168:169], v[149:150], s[16:17]
	v_mul_f64 v[149:150], v[149:150], s[22:23]
	v_add_f64 v[116:117], v[116:117], v[16:17]
	v_add_f64 v[151:152], v[151:152], v[18:19]
	;; [unrolled: 1-line block ×4, first 2 shown]
	v_mul_f64 v[185:186], v[187:188], s[16:17]
	v_mul_f64 v[189:190], v[170:171], s[18:19]
	v_fma_f64 v[6:7], v[0:1], s[6:7], v[6:7]
	v_fma_f64 v[0:1], v[0:1], s[6:7], v[8:9]
	;; [unrolled: 1-line block ×16, first 2 shown]
	v_add_f64 v[104:105], v[116:117], v[28:29]
	v_add_f64 v[114:115], v[151:152], v[30:31]
	v_add_f64 v[106:107], v[164:165], v[52:53]
	v_add_f64 v[116:117], v[166:167], v[54:55]
	v_fma_f64 v[108:109], v[170:171], s[20:21], v[185:186]
	v_fma_f64 v[118:119], v[187:188], s[20:21], v[189:190]
	v_add_f64 v[149:150], v[6:7], v[162:163]
	v_add_f64 v[153:154], v[6:7], -v[162:163]
	v_add_f64 v[157:158], v[0:1], v[8:9]
	v_add_f64 v[161:162], v[0:1], -v[8:9]
	v_mul_u32_u24_e32 v0, 10, v174
	v_add_f64 v[151:152], v[155:156], v[4:5]
	v_add_f64 v[155:156], v[155:156], -v[4:5]
	v_add_f64 v[159:160], v[2:3], v[10:11]
	v_add_f64 v[163:164], v[2:3], -v[10:11]
	v_lshl_add_u32 v124, v0, 4, 0
	v_add_f64 v[165:166], v[191:192], v[193:194]
	v_add_f64 v[167:168], v[183:184], v[195:196]
	v_add_f64 v[181:182], v[191:192], -v[193:194]
	v_add_f64 v[183:184], v[183:184], -v[195:196]
	v_add_f64 v[8:9], v[92:93], v[100:101]
	v_add_f64 v[10:11], v[120:121], v[122:123]
	s_barrier
	v_add_f64 v[0:1], v[104:105], -v[106:107]
	v_add_f64 v[2:3], v[114:115], -v[116:117]
	;; [unrolled: 1-line block ×4, first 2 shown]
	buffer_gl0_inv
	ds_write_b128 v124, v[64:67]
	ds_write_b128 v124, v[68:71] offset:16
	ds_write_b128 v124, v[80:83] offset:32
	;; [unrolled: 1-line block ×19, first 2 shown]
	s_and_saveexec_b32 s1, s0
	s_cbranch_execz .LBB0_23
; %bb.22:
	v_add_f64 v[60:61], v[50:51], v[54:55]
	v_add_f64 v[62:63], v[48:49], v[52:53]
	v_add_f64 v[42:43], v[42:43], -v[50:51]
	v_add_f64 v[46:47], v[46:47], -v[54:55]
	;; [unrolled: 1-line block ×8, first 2 shown]
	v_fma_f64 v[58:59], v[60:61], -0.5, v[58:59]
	v_add_f64 v[60:61], v[22:23], v[30:31]
	v_fma_f64 v[50:51], v[62:63], -0.5, v[56:57]
	v_add_f64 v[42:43], v[42:43], v[46:47]
	v_add_f64 v[14:15], v[14:15], v[18:19]
	;; [unrolled: 1-line block ×3, first 2 shown]
	v_fma_f64 v[54:55], v[98:99], s[8:9], v[58:59]
	v_fma_f64 v[56:57], v[98:99], s[4:5], v[58:59]
	v_add_f64 v[58:59], v[20:21], v[28:29]
	v_fma_f64 v[26:27], v[60:61], -0.5, v[26:27]
	v_fma_f64 v[46:47], v[96:97], s[4:5], v[50:51]
	v_fma_f64 v[48:49], v[96:97], s[8:9], v[50:51]
	v_add_f64 v[20:21], v[40:41], v[44:45]
	v_fma_f64 v[50:51], v[32:33], s[16:17], v[54:55]
	v_fma_f64 v[32:33], v[32:33], s[18:19], v[56:57]
	v_fma_f64 v[24:25], v[58:59], -0.5, v[24:25]
	v_fma_f64 v[22:23], v[110:111], s[8:9], v[26:27]
	v_fma_f64 v[26:27], v[110:111], s[4:5], v[26:27]
	;; [unrolled: 1-line block ×12, first 2 shown]
	v_mul_f64 v[26:27], v[34:35], s[14:15]
	v_mul_f64 v[28:29], v[32:33], s[6:7]
	v_fma_f64 v[30:31], v[36:37], s[18:19], v[40:41]
	v_fma_f64 v[24:25], v[36:37], s[16:17], v[24:25]
	v_mul_f64 v[32:33], v[32:33], s[4:5]
	v_mul_f64 v[34:35], v[34:35], s[4:5]
	v_fma_f64 v[36:37], v[14:15], s[6:7], v[16:17]
	v_fma_f64 v[38:39], v[14:15], s[6:7], v[18:19]
	v_add_f64 v[18:19], v[112:113], v[118:119]
	v_add_f64 v[16:17], v[102:103], v[108:109]
	v_add_f64 v[14:15], v[120:121], -v[122:123]
	v_fma_f64 v[40:41], v[22:23], s[8:9], v[26:27]
	v_fma_f64 v[28:29], v[20:21], s[8:9], v[28:29]
	;; [unrolled: 1-line block ×6, first 2 shown]
	v_add_f64 v[22:23], v[114:115], v[116:117]
	v_add_f64 v[20:21], v[104:105], v[106:107]
	v_add_f64 v[26:27], v[36:37], -v[40:41]
	v_add_f64 v[30:31], v[38:39], -v[28:29]
	v_add_f64 v[34:35], v[36:37], v[40:41]
	v_add_f64 v[38:39], v[38:39], v[28:29]
	;; [unrolled: 1-line block ×4, first 2 shown]
	v_add_f64 v[28:29], v[12:13], -v[24:25]
	v_add_f64 v[24:25], v[42:43], -v[44:45]
	;; [unrolled: 1-line block ×3, first 2 shown]
	ds_write_b128 v124, v[8:11] offset:28864
	ds_write_b128 v124, v[0:3] offset:28880
	;; [unrolled: 1-line block ×10, first 2 shown]
.LBB0_23:
	s_or_b32 exec_lo, exec_lo, s1
	s_waitcnt lgkmcnt(0)
	s_barrier
	buffer_gl0_inv
	ds_read_b128 v[12:15], v180 offset:1440
	ds_read_b128 v[16:19], v180 offset:2880
	;; [unrolled: 1-line block ×22, first 2 shown]
	ds_read_b128 v[40:43], v180
	ds_read_b128 v[76:79], v180 offset:34080
	v_cmp_gt_u32_e64 s0, 30, v174
	s_and_saveexec_b32 s1, s0
	s_cbranch_execz .LBB0_25
; %bb.24:
	ds_read_b128 v[0:3], v180 offset:23520
	ds_read_b128 v[8:11], v180 offset:11520
	;; [unrolled: 1-line block ×3, first 2 shown]
.LBB0_25:
	s_or_b32 exec_lo, exec_lo, s1
	v_and_b32_e32 v110, 0xff, v174
	v_mov_b32_e32 v108, 0xcccd
	v_add_nc_u32_e32 v182, 0x10e, v174
	v_add_nc_u32_e32 v181, 0xb4, v174
	;; [unrolled: 1-line block ×3, first 2 shown]
	v_mul_lo_u16 v109, 0xcd, v110
	v_add_nc_u32_e32 v140, 0x1c2, v174
	v_mul_u32_u24_sdwa v113, v182, v108 dst_sel:DWORD dst_unused:UNUSED_PAD src0_sel:WORD_0 src1_sel:DWORD
	v_mul_u32_u24_sdwa v112, v181, v108 dst_sel:DWORD dst_unused:UNUSED_PAD src0_sel:WORD_0 src1_sel:DWORD
	v_mul_u32_u24_sdwa v117, v175, v108 dst_sel:DWORD dst_unused:UNUSED_PAD src0_sel:WORD_0 src1_sel:DWORD
	v_lshrrev_b16 v111, 11, v109
	v_mov_b32_e32 v115, 5
	v_lshrrev_b32_e32 v113, 19, v113
	v_lshrrev_b32_e32 v112, 19, v112
	;; [unrolled: 1-line block ×3, first 2 shown]
	v_mul_lo_u16 v114, v111, 10
	v_add_nc_u32_e32 v148, 0x21c, v174
	v_mul_lo_u16 v116, v113, 10
	v_mul_lo_u16 v109, v112, 10
	;; [unrolled: 1-line block ×3, first 2 shown]
	v_sub_nc_u16 v114, v174, v114
	v_add_nc_u32_e32 v149, 0x276, v174
	v_sub_nc_u16 v145, v182, v116
	v_mul_u32_u24_sdwa v116, v140, v108 dst_sel:DWORD dst_unused:UNUSED_PAD src0_sel:WORD_0 src1_sel:DWORD
	v_sub_nc_u16 v138, v181, v109
	v_lshlrev_b32_sdwa v109, v115, v114 dst_sel:DWORD dst_unused:UNUSED_PAD src0_sel:DWORD src1_sel:BYTE_0
	v_sub_nc_u16 v147, v175, v134
	v_add_nc_u32_e32 v183, 0x5a, v174
	v_lshrrev_b32_e32 v146, 19, v116
	v_lshlrev_b32_sdwa v117, v115, v138 dst_sel:DWORD dst_unused:UNUSED_PAD src0_sel:DWORD src1_sel:WORD_0
	s_clause 0x3
	global_load_dwordx4 v[118:121], v109, s[12:13]
	global_load_dwordx4 v[122:125], v109, s[12:13] offset:16
	global_load_dwordx4 v[126:129], v117, s[12:13]
	global_load_dwordx4 v[130:133], v117, s[12:13] offset:16
	v_mul_u32_u24_sdwa v109, v148, v108 dst_sel:DWORD dst_unused:UNUSED_PAD src0_sel:WORD_0 src1_sel:DWORD
	v_mul_lo_u16 v116, v146, 10
	v_add_nc_u32_e32 v184, 0x2d0, v174
	v_lshlrev_b32_sdwa v141, v115, v145 dst_sel:DWORD dst_unused:UNUSED_PAD src0_sel:DWORD src1_sel:WORD_0
	v_lshlrev_b32_sdwa v117, v115, v147 dst_sel:DWORD dst_unused:UNUSED_PAD src0_sel:DWORD src1_sel:WORD_0
	v_lshrrev_b32_e32 v170, 19, v109
	v_sub_nc_u16 v171, v140, v116
	v_mul_u32_u24_sdwa v116, v149, v108 dst_sel:DWORD dst_unused:UNUSED_PAD src0_sel:WORD_0 src1_sel:DWORD
	v_and_b32_e32 v109, 0xff, v183
	v_mul_u32_u24_sdwa v108, v184, v108 dst_sel:DWORD dst_unused:UNUSED_PAD src0_sel:WORD_0 src1_sel:DWORD
	s_clause 0x3
	global_load_dwordx4 v[134:137], v141, s[12:13]
	global_load_dwordx4 v[141:144], v141, s[12:13] offset:16
	global_load_dwordx4 v[150:153], v117, s[12:13]
	global_load_dwordx4 v[154:157], v117, s[12:13] offset:16
	v_lshrrev_b32_e32 v178, 19, v116
	v_mul_lo_u16 v117, 0xcd, v109
	v_lshrrev_b32_e32 v116, 19, v108
	v_mul_lo_u16 v158, v170, 10
	v_lshlrev_b32_sdwa v108, v115, v171 dst_sel:DWORD dst_unused:UNUSED_PAD src0_sel:DWORD src1_sel:WORD_0
	v_mul_lo_u16 v166, v178, 10
	v_lshrrev_b16 v214, 11, v117
	v_mul_lo_u16 v189, v116, 10
	v_sub_nc_u16 v179, v148, v158
	s_clause 0x1
	global_load_dwordx4 v[158:161], v108, s[12:13]
	global_load_dwordx4 v[162:165], v108, s[12:13] offset:16
	v_sub_nc_u16 v213, v149, v166
	v_mul_lo_u16 v193, v214, 10
	v_sub_nc_u16 v117, v184, v189
	v_lshlrev_b32_sdwa v185, v115, v179 dst_sel:DWORD dst_unused:UNUSED_PAD src0_sel:DWORD src1_sel:WORD_0
	s_clause 0x1
	global_load_dwordx4 v[166:169], v185, s[12:13]
	global_load_dwordx4 v[185:188], v185, s[12:13] offset:16
	v_lshlrev_b32_sdwa v108, v115, v213 dst_sel:DWORD dst_unused:UNUSED_PAD src0_sel:DWORD src1_sel:WORD_0
	v_sub_nc_u16 v215, v183, v193
	v_lshlrev_b32_sdwa v201, v115, v117 dst_sel:DWORD dst_unused:UNUSED_PAD src0_sel:DWORD src1_sel:WORD_0
	v_mul_u32_u24_e32 v112, 0x1e0, v112
	v_mul_u32_u24_e32 v113, 0x1e0, v113
	s_clause 0x2
	global_load_dwordx4 v[189:192], v108, s[12:13]
	global_load_dwordx4 v[193:196], v108, s[12:13] offset:16
	global_load_dwordx4 v[197:200], v201, s[12:13]
	v_lshlrev_b32_sdwa v108, v115, v215 dst_sel:DWORD dst_unused:UNUSED_PAD src0_sel:DWORD src1_sel:BYTE_0
	s_clause 0x2
	global_load_dwordx4 v[201:204], v201, s[12:13] offset:16
	global_load_dwordx4 v[205:208], v108, s[12:13]
	global_load_dwordx4 v[209:212], v108, s[12:13] offset:16
	v_mov_b32_e32 v115, 0x1e0
	v_mov_b32_e32 v108, 4
	v_mul_u32_u24_e32 v139, 0x1e0, v139
	v_mul_u32_u24_e32 v146, 0x1e0, v146
	;; [unrolled: 1-line block ×3, first 2 shown]
	v_mul_u32_u24_sdwa v111, v111, v115 dst_sel:DWORD dst_unused:UNUSED_PAD src0_sel:WORD_0 src1_sel:DWORD
	v_lshlrev_b32_sdwa v114, v108, v114 dst_sel:DWORD dst_unused:UNUSED_PAD src0_sel:DWORD src1_sel:BYTE_0
	v_mul_u32_u24_sdwa v115, v214, v115 dst_sel:DWORD dst_unused:UNUSED_PAD src0_sel:WORD_0 src1_sel:DWORD
	v_lshlrev_b32_sdwa v138, v108, v138 dst_sel:DWORD dst_unused:UNUSED_PAD src0_sel:DWORD src1_sel:WORD_0
	v_lshlrev_b32_sdwa v145, v108, v145 dst_sel:DWORD dst_unused:UNUSED_PAD src0_sel:DWORD src1_sel:WORD_0
	;; [unrolled: 1-line block ×3, first 2 shown]
	v_add3_u32 v225, 0, v111, v114
	v_lshlrev_b32_sdwa v111, v108, v215 dst_sel:DWORD dst_unused:UNUSED_PAD src0_sel:DWORD src1_sel:BYTE_0
	v_add3_u32 v226, 0, v112, v138
	v_add3_u32 v227, 0, v113, v145
	;; [unrolled: 1-line block ×3, first 2 shown]
	v_mul_u32_u24_e32 v178, 0x1e0, v178
	v_add3_u32 v115, 0, v115, v111
	v_lshlrev_b32_sdwa v171, v108, v171 dst_sel:DWORD dst_unused:UNUSED_PAD src0_sel:DWORD src1_sel:WORD_0
	v_lshlrev_b32_sdwa v179, v108, v179 dst_sel:DWORD dst_unused:UNUSED_PAD src0_sel:DWORD src1_sel:WORD_0
	;; [unrolled: 1-line block ×3, first 2 shown]
	s_mov_b32 s4, 0xe8584caa
	s_mov_b32 s5, 0xbfebb67a
	v_add3_u32 v228, 0, v146, v171
	v_add3_u32 v229, 0, v170, v179
	;; [unrolled: 1-line block ×3, first 2 shown]
	s_mov_b32 s7, 0x3febb67a
	s_mov_b32 s6, s4
	s_waitcnt vmcnt(0) lgkmcnt(0)
	s_barrier
	buffer_gl0_inv
	v_mul_f64 v[111:112], v[106:107], v[120:121]
	v_mul_f64 v[113:114], v[104:105], v[120:121]
	v_mul_f64 v[120:121], v[102:103], v[124:125]
	v_mul_f64 v[124:125], v[100:101], v[124:125]
	v_mul_f64 v[138:139], v[98:99], v[128:129]
	v_mul_f64 v[128:129], v[96:97], v[128:129]
	v_mul_f64 v[145:146], v[54:55], v[132:133]
	v_mul_f64 v[132:133], v[52:53], v[132:133]
	v_mul_f64 v[170:171], v[82:83], v[136:137]
	v_mul_f64 v[136:137], v[80:81], v[136:137]
	v_mul_f64 v[178:179], v[86:87], v[143:144]
	v_mul_f64 v[143:144], v[84:85], v[143:144]
	v_mul_f64 v[213:214], v[58:59], v[152:153]
	v_mul_f64 v[152:153], v[56:57], v[152:153]
	v_mul_f64 v[215:216], v[62:63], v[156:157]
	v_mul_f64 v[156:157], v[60:61], v[156:157]
	v_fma_f64 v[104:105], v[104:105], v[118:119], v[111:112]
	v_fma_f64 v[106:107], v[106:107], v[118:119], -v[113:114]
	v_mul_f64 v[217:218], v[90:91], v[160:161]
	v_mul_f64 v[160:161], v[88:89], v[160:161]
	v_mul_f64 v[219:220], v[94:95], v[164:165]
	v_mul_f64 v[164:165], v[92:93], v[164:165]
	v_fma_f64 v[100:101], v[100:101], v[122:123], v[120:121]
	v_fma_f64 v[102:103], v[102:103], v[122:123], -v[124:125]
	v_fma_f64 v[98:99], v[98:99], v[126:127], -v[128:129]
	v_fma_f64 v[96:97], v[96:97], v[126:127], v[138:139]
	v_fma_f64 v[145:146], v[52:53], v[130:131], v[145:146]
	v_mul_f64 v[221:222], v[66:67], v[168:169]
	v_mul_f64 v[223:224], v[70:71], v[187:188]
	;; [unrolled: 1-line block ×4, first 2 shown]
	v_fma_f64 v[130:131], v[54:55], v[130:131], -v[132:133]
	v_fma_f64 v[80:81], v[80:81], v[134:135], v[170:171]
	v_fma_f64 v[82:83], v[82:83], v[134:135], -v[136:137]
	v_mul_f64 v[111:112], v[74:75], v[191:192]
	v_mul_f64 v[113:114], v[72:73], v[191:192]
	;; [unrolled: 1-line block ×12, first 2 shown]
	v_fma_f64 v[86:87], v[86:87], v[141:142], -v[143:144]
	v_fma_f64 v[132:133], v[56:57], v[150:151], v[213:214]
	v_fma_f64 v[134:135], v[58:59], v[150:151], -v[152:153]
	v_fma_f64 v[60:61], v[60:61], v[154:155], v[215:216]
	;; [unrolled: 2-line block ×5, first 2 shown]
	v_fma_f64 v[68:69], v[68:69], v[185:186], v[223:224]
	v_fma_f64 v[72:73], v[72:73], v[189:190], v[111:112]
	;; [unrolled: 1-line block ×5, first 2 shown]
	v_fma_f64 v[58:59], v[2:3], v[197:198], -v[122:123]
	v_fma_f64 v[54:55], v[4:5], v[201:202], v[124:125]
	v_fma_f64 v[56:57], v[6:7], v[201:202], -v[195:196]
	v_fma_f64 v[2:3], v[46:47], v[205:206], -v[128:129]
	;; [unrolled: 1-line block ×3, first 2 shown]
	v_fma_f64 v[0:1], v[44:45], v[205:206], v[126:127]
	v_fma_f64 v[4:5], v[48:49], v[209:210], v[138:139]
	v_fma_f64 v[66:67], v[66:67], v[166:167], -v[168:169]
	v_fma_f64 v[70:71], v[70:71], v[185:186], -v[187:188]
	;; [unrolled: 1-line block ×4, first 2 shown]
	v_add_f64 v[44:45], v[40:41], v[104:105]
	v_add_f64 v[50:51], v[106:107], -v[102:103]
	v_add_f64 v[46:47], v[42:43], v[106:107]
	v_add_f64 v[106:107], v[106:107], v[102:103]
	;; [unrolled: 1-line block ×3, first 2 shown]
	v_add_f64 v[118:119], v[98:99], -v[130:131]
	v_add_f64 v[120:121], v[18:19], v[98:99]
	v_add_f64 v[98:99], v[98:99], v[130:131]
	v_add_f64 v[126:127], v[82:83], -v[86:87]
	v_add_f64 v[128:129], v[30:31], v[82:83]
	v_add_f64 v[82:83], v[82:83], v[86:87]
	;; [unrolled: 1-line block ×3, first 2 shown]
	v_add_f64 v[141:142], v[134:135], -v[62:63]
	v_add_f64 v[143:144], v[22:23], v[134:135]
	v_add_f64 v[134:135], v[134:135], v[62:63]
	v_add_f64 v[150:151], v[32:33], v[88:89]
	v_add_f64 v[152:153], v[88:89], v[92:93]
	v_add_f64 v[154:155], v[90:91], -v[94:95]
	v_add_f64 v[156:157], v[34:35], v[90:91]
	v_add_f64 v[90:91], v[90:91], v[94:95]
	v_add_f64 v[158:159], v[88:89], -v[92:93]
	v_add_f64 v[88:89], v[24:25], v[64:65]
	v_add_f64 v[160:161], v[64:65], v[68:69]
	v_add_f64 v[166:167], v[64:65], -v[68:69]
	v_add_f64 v[64:65], v[36:37], v[72:73]
	v_add_f64 v[168:169], v[72:73], v[76:77]
	v_add_f64 v[185:186], v[72:73], -v[76:77]
	v_add_f64 v[72:73], v[52:53], v[54:55]
	v_add_f64 v[189:190], v[58:59], v[56:57]
	v_add_f64 v[197:198], v[2:3], v[6:7]
	v_add_f64 v[48:49], v[104:105], v[100:101]
	;; [unrolled: 1-line block ×6, first 2 shown]
	v_add_f64 v[162:163], v[66:67], -v[70:71]
	v_add_f64 v[164:165], v[26:27], v[66:67]
	v_add_f64 v[66:67], v[66:67], v[70:71]
	v_add_f64 v[104:105], v[104:105], -v[100:101]
	v_add_f64 v[80:81], v[80:81], -v[84:85]
	v_add_f64 v[170:171], v[74:75], -v[78:79]
	v_add_f64 v[178:179], v[38:39], v[74:75]
	v_add_f64 v[74:75], v[74:75], v[78:79]
	v_add_f64 v[187:188], v[58:59], -v[56:57]
	v_add_f64 v[191:192], v[52:53], -v[54:55]
	v_add_f64 v[193:194], v[12:13], v[0:1]
	v_add_f64 v[199:200], v[2:3], -v[6:7]
	v_add_f64 v[2:3], v[14:15], v[2:3]
	;; [unrolled: 2-line block ×3, first 2 shown]
	v_add_f64 v[46:47], v[46:47], v[102:103]
	v_fma_f64 v[100:101], v[106:107], -0.5, v[42:43]
	v_add_f64 v[42:43], v[120:121], v[130:131]
	v_fma_f64 v[102:103], v[113:114], -0.5, v[16:17]
	v_fma_f64 v[98:99], v[98:99], -0.5, v[18:19]
	v_add_f64 v[18:19], v[128:129], v[86:87]
	v_fma_f64 v[82:83], v[82:83], -0.5, v[30:31]
	v_fma_f64 v[86:87], v[138:139], -0.5, v[20:21]
	;; [unrolled: 1-line block ×8, first 2 shown]
	v_add_f64 v[40:41], v[111:112], v[145:146]
	v_add_f64 v[16:17], v[122:123], v[84:85]
	v_fma_f64 v[84:85], v[124:125], -0.5, v[28:29]
	v_fma_f64 v[111:112], v[152:153], -0.5, v[32:33]
	v_add_f64 v[32:33], v[88:89], v[68:69]
	v_fma_f64 v[88:89], v[195:196], -0.5, v[12:13]
	v_add_f64 v[96:97], v[96:97], -v[145:146]
	v_add_f64 v[136:137], v[20:21], v[132:133]
	v_add_f64 v[132:133], v[132:133], -v[60:61]
	v_fma_f64 v[120:121], v[160:161], -0.5, v[24:25]
	v_fma_f64 v[122:123], v[66:67], -0.5, v[26:27]
	v_add_f64 v[34:35], v[164:165], v[70:71]
	v_add_f64 v[24:25], v[64:65], v[76:77]
	v_fma_f64 v[124:125], v[168:169], -0.5, v[36:37]
	v_fma_f64 v[128:129], v[74:75], -0.5, v[38:39]
	v_add_f64 v[12:13], v[193:194], v[4:5]
	v_add_f64 v[14:15], v[2:3], v[6:7]
	v_fma_f64 v[70:71], v[80:81], s[6:7], v[82:83]
	v_fma_f64 v[74:75], v[80:81], s[4:5], v[82:83]
	;; [unrolled: 1-line block ×18, first 2 shown]
	v_add_f64 v[28:29], v[136:137], v[60:61]
	v_add_f64 v[30:31], v[143:144], v[62:63]
	v_fma_f64 v[60:61], v[118:119], s[4:5], v[102:103]
	v_fma_f64 v[62:63], v[96:97], s[6:7], v[98:99]
	;; [unrolled: 1-line block ×4, first 2 shown]
	v_add_f64 v[26:27], v[178:179], v[78:79]
	v_fma_f64 v[78:79], v[132:133], s[6:7], v[106:107]
	v_fma_f64 v[82:83], v[132:133], s[4:5], v[106:107]
	v_add_f64 v[20:21], v[150:151], v[92:93]
	v_add_f64 v[22:23], v[156:157], v[94:95]
	v_fma_f64 v[92:93], v[154:155], s[4:5], v[111:112]
	v_fma_f64 v[94:95], v[158:159], s[6:7], v[113:114]
	;; [unrolled: 1-line block ×12, first 2 shown]
	ds_write_b128 v225, v[44:47]
	ds_write_b128 v225, v[36:39] offset:160
	ds_write_b128 v225, v[48:51] offset:320
	ds_write_b128 v115, v[12:15]
	ds_write_b128 v115, v[84:87] offset:160
	ds_write_b128 v115, v[88:91] offset:320
	;; [unrolled: 3-line block ×8, first 2 shown]
	s_and_saveexec_b32 s1, s0
	s_cbranch_execz .LBB0_27
; %bb.26:
	v_add_f64 v[10:11], v[10:11], v[58:59]
	v_add_f64 v[8:9], v[8:9], v[52:53]
	v_mul_lo_u16 v12, v116, 30
	v_lshlrev_b32_sdwa v13, v108, v117 dst_sel:DWORD dst_unused:UNUSED_PAD src0_sel:DWORD src1_sel:WORD_0
	v_lshlrev_b32_sdwa v12, v108, v12 dst_sel:DWORD dst_unused:UNUSED_PAD src0_sel:DWORD src1_sel:WORD_0
	v_add3_u32 v12, 0, v13, v12
	v_add_f64 v[10:11], v[10:11], v[56:57]
	v_add_f64 v[8:9], v[8:9], v[54:55]
	ds_write_b128 v12, v[0:3] offset:160
	ds_write_b128 v12, v[8:11]
	ds_write_b128 v12, v[4:7] offset:320
.LBB0_27:
	s_or_b32 exec_lo, exec_lo, s1
	v_mul_lo_u16 v8, 0x89, v110
	v_mov_b32_e32 v34, 6
	s_waitcnt lgkmcnt(0)
	s_barrier
	buffer_gl0_inv
	v_lshrrev_b16 v32, 12, v8
	v_mul_lo_u16 v53, 0x89, v109
	v_mov_b32_e32 v111, 0x8889
	s_mov_b32 s8, 0x134454ff
	s_mov_b32 s9, 0xbfee6f0e
	v_mul_lo_u16 v8, v32, 30
	v_lshrrev_b16 v107, 12, v53
	s_mov_b32 s15, 0x3fee6f0e
	s_mov_b32 s14, s8
	;; [unrolled: 1-line block ×3, first 2 shown]
	v_sub_nc_u16 v33, v174, v8
	s_mov_b32 s5, 0xbfe2cf23
	s_mov_b32 s7, 0x3fe2cf23
	;; [unrolled: 1-line block ×4, first 2 shown]
	v_lshlrev_b32_sdwa v8, v34, v33 dst_sel:DWORD dst_unused:UNUSED_PAD src0_sel:DWORD src1_sel:BYTE_0
	s_mov_b32 s17, 0x3fd3c6ef
	v_lshlrev_b32_sdwa v33, v108, v33 dst_sel:DWORD dst_unused:UNUSED_PAD src0_sel:DWORD src1_sel:BYTE_0
	s_clause 0x3
	global_load_dwordx4 v[20:23], v8, s[12:13] offset:320
	global_load_dwordx4 v[16:19], v8, s[12:13] offset:336
	global_load_dwordx4 v[12:15], v8, s[12:13] offset:352
	global_load_dwordx4 v[8:11], v8, s[12:13] offset:368
	ds_read_b128 v[24:27], v180 offset:7200
	ds_read_b128 v[28:31], v180 offset:14400
	ds_read_b128 v[35:38], v180 offset:5760
	ds_read_b128 v[43:46], v180 offset:21600
	ds_read_b128 v[39:42], v180 offset:15840
	s_waitcnt vmcnt(3) lgkmcnt(4)
	v_mul_f64 v[47:48], v[26:27], v[22:23]
	v_mul_f64 v[22:23], v[24:25], v[22:23]
	s_waitcnt vmcnt(2) lgkmcnt(3)
	v_mul_f64 v[49:50], v[30:31], v[18:19]
	v_mul_f64 v[51:52], v[28:29], v[18:19]
	v_mul_lo_u16 v18, v107, 30
	v_sub_nc_u16 v127, v183, v18
	v_lshlrev_b32_sdwa v69, v34, v127 dst_sel:DWORD dst_unused:UNUSED_PAD src0_sel:DWORD src1_sel:BYTE_0
	v_fma_f64 v[47:48], v[24:25], v[20:21], v[47:48]
	v_fma_f64 v[53:54], v[26:27], v[20:21], -v[22:23]
	ds_read_b128 v[18:21], v180 offset:20160
	v_fma_f64 v[49:50], v[28:29], v[16:17], v[49:50]
	v_fma_f64 v[30:31], v[30:31], v[16:17], -v[51:52]
	ds_read_b128 v[22:25], v180 offset:28800
	s_waitcnt vmcnt(1) lgkmcnt(3)
	v_mul_f64 v[26:27], v[45:46], v[14:15]
	v_mul_f64 v[55:56], v[43:44], v[14:15]
	global_load_dwordx4 v[14:17], v69, s[12:13] offset:320
	v_fma_f64 v[51:52], v[43:44], v[12:13], v[26:27]
	v_fma_f64 v[55:56], v[45:46], v[12:13], -v[55:56]
	s_waitcnt vmcnt(1) lgkmcnt(0)
	v_mul_f64 v[12:13], v[24:25], v[10:11]
	v_mul_f64 v[10:11], v[22:23], v[10:11]
	ds_read_b128 v[26:29], v180 offset:30240
	v_fma_f64 v[57:58], v[22:23], v[8:9], v[12:13]
	v_fma_f64 v[59:60], v[24:25], v[8:9], -v[10:11]
	global_load_dwordx4 v[8:11], v69, s[12:13] offset:336
	ds_read_b128 v[22:25], v180 offset:8640
	ds_read_b128 v[43:46], v180 offset:10080
	s_waitcnt vmcnt(1) lgkmcnt(1)
	v_mul_f64 v[12:13], v[24:25], v[16:17]
	v_fma_f64 v[61:62], v[22:23], v[14:15], v[12:13]
	v_mul_f64 v[12:13], v[22:23], v[16:17]
	v_fma_f64 v[63:64], v[24:25], v[14:15], -v[12:13]
	s_waitcnt vmcnt(0)
	v_mul_f64 v[12:13], v[41:42], v[10:11]
	v_mul_f64 v[10:11], v[39:40], v[10:11]
	v_fma_f64 v[65:66], v[39:40], v[8:9], v[12:13]
	v_fma_f64 v[67:68], v[41:42], v[8:9], -v[10:11]
	s_clause 0x1
	global_load_dwordx4 v[8:11], v69, s[12:13] offset:352
	global_load_dwordx4 v[12:15], v69, s[12:13] offset:368
	ds_read_b128 v[22:25], v180 offset:23040
	ds_read_b128 v[39:42], v180 offset:24480
	s_waitcnt vmcnt(1) lgkmcnt(1)
	v_mul_f64 v[16:17], v[24:25], v[10:11]
	v_mul_f64 v[10:11], v[22:23], v[10:11]
	v_fma_f64 v[69:70], v[22:23], v[8:9], v[16:17]
	v_fma_f64 v[71:72], v[24:25], v[8:9], -v[10:11]
	s_waitcnt vmcnt(0)
	v_mul_f64 v[8:9], v[28:29], v[14:15]
	v_fma_f64 v[73:74], v[26:27], v[12:13], v[8:9]
	v_mul_f64 v[8:9], v[26:27], v[14:15]
	v_fma_f64 v[75:76], v[28:29], v[12:13], -v[8:9]
	v_mul_u32_u24_sdwa v8, v181, v111 dst_sel:DWORD dst_unused:UNUSED_PAD src0_sel:WORD_0 src1_sel:DWORD
	v_lshrrev_b32_e32 v128, 20, v8
	v_mul_lo_u16 v8, v128, 30
	v_sub_nc_u16 v129, v181, v8
	v_lshlrev_b32_sdwa v26, v34, v129 dst_sel:DWORD dst_unused:UNUSED_PAD src0_sel:DWORD src1_sel:WORD_0
	s_clause 0x1
	global_load_dwordx4 v[8:11], v26, s[12:13] offset:320
	global_load_dwordx4 v[12:15], v26, s[12:13] offset:336
	s_waitcnt vmcnt(1)
	v_mul_f64 v[16:17], v[45:46], v[10:11]
	v_mul_f64 v[10:11], v[43:44], v[10:11]
	v_fma_f64 v[77:78], v[43:44], v[8:9], v[16:17]
	v_fma_f64 v[79:80], v[45:46], v[8:9], -v[10:11]
	ds_read_b128 v[8:11], v180 offset:17280
	ds_read_b128 v[22:25], v180 offset:18720
	v_add_f64 v[45:46], v[47:48], -v[49:50]
	s_waitcnt vmcnt(0) lgkmcnt(1)
	v_mul_f64 v[16:17], v[10:11], v[14:15]
	v_fma_f64 v[81:82], v[8:9], v[12:13], v[16:17]
	v_mul_f64 v[8:9], v[8:9], v[14:15]
	v_fma_f64 v[83:84], v[10:11], v[12:13], -v[8:9]
	s_clause 0x1
	global_load_dwordx4 v[8:11], v26, s[12:13] offset:352
	global_load_dwordx4 v[12:15], v26, s[12:13] offset:368
	s_waitcnt vmcnt(1)
	v_mul_f64 v[16:17], v[41:42], v[10:11]
	v_mul_f64 v[10:11], v[39:40], v[10:11]
	v_fma_f64 v[85:86], v[39:40], v[8:9], v[16:17]
	v_fma_f64 v[87:88], v[41:42], v[8:9], -v[10:11]
	ds_read_b128 v[8:11], v180 offset:31680
	s_waitcnt vmcnt(0) lgkmcnt(0)
	v_mul_f64 v[16:17], v[10:11], v[14:15]
	v_fma_f64 v[89:90], v[8:9], v[12:13], v[16:17]
	v_mul_f64 v[8:9], v[8:9], v[14:15]
	v_fma_f64 v[91:92], v[10:11], v[12:13], -v[8:9]
	v_mul_u32_u24_sdwa v8, v182, v111 dst_sel:DWORD dst_unused:UNUSED_PAD src0_sel:WORD_0 src1_sel:DWORD
	v_lshrrev_b32_e32 v130, 20, v8
	v_mul_lo_u16 v8, v130, 30
	v_sub_nc_u16 v131, v182, v8
	v_lshlrev_b32_sdwa v43, v34, v131 dst_sel:DWORD dst_unused:UNUSED_PAD src0_sel:DWORD src1_sel:WORD_0
	s_clause 0x1
	global_load_dwordx4 v[8:11], v43, s[12:13] offset:320
	global_load_dwordx4 v[12:15], v43, s[12:13] offset:336
	ds_read_b128 v[26:29], v180 offset:11520
	ds_read_b128 v[39:42], v180 offset:12960
	s_waitcnt vmcnt(1) lgkmcnt(1)
	v_mul_f64 v[16:17], v[28:29], v[10:11]
	v_mul_f64 v[10:11], v[26:27], v[10:11]
	v_fma_f64 v[93:94], v[26:27], v[8:9], v[16:17]
	v_fma_f64 v[95:96], v[28:29], v[8:9], -v[10:11]
	s_waitcnt vmcnt(0)
	v_mul_f64 v[8:9], v[24:25], v[14:15]
	v_fma_f64 v[97:98], v[22:23], v[12:13], v[8:9]
	v_mul_f64 v[8:9], v[22:23], v[14:15]
	v_fma_f64 v[99:100], v[24:25], v[12:13], -v[8:9]
	s_clause 0x1
	global_load_dwordx4 v[8:11], v43, s[12:13] offset:352
	global_load_dwordx4 v[12:15], v43, s[12:13] offset:368
	ds_read_b128 v[22:25], v180 offset:25920
	ds_read_b128 v[26:29], v180 offset:27360
	v_add_f64 v[43:44], v[47:48], -v[57:58]
	s_waitcnt vmcnt(1) lgkmcnt(1)
	v_mul_f64 v[16:17], v[24:25], v[10:11]
	v_mul_f64 v[10:11], v[22:23], v[10:11]
	v_fma_f64 v[101:102], v[22:23], v[8:9], v[16:17]
	v_fma_f64 v[103:104], v[24:25], v[8:9], -v[10:11]
	ds_read_b128 v[8:11], v180 offset:33120
	ds_read_b128 v[22:25], v180 offset:34560
	s_waitcnt vmcnt(0) lgkmcnt(1)
	v_mul_f64 v[16:17], v[10:11], v[14:15]
	v_fma_f64 v[105:106], v[8:9], v[12:13], v[16:17]
	v_mul_f64 v[8:9], v[8:9], v[14:15]
	v_fma_f64 v[109:110], v[10:11], v[12:13], -v[8:9]
	v_mul_u32_u24_sdwa v8, v175, v111 dst_sel:DWORD dst_unused:UNUSED_PAD src0_sel:WORD_0 src1_sel:DWORD
	v_lshrrev_b32_e32 v132, 20, v8
	v_mul_lo_u16 v8, v132, 30
	v_sub_nc_u16 v133, v175, v8
	v_lshlrev_b32_sdwa v34, v34, v133 dst_sel:DWORD dst_unused:UNUSED_PAD src0_sel:DWORD src1_sel:WORD_0
	s_clause 0x1
	global_load_dwordx4 v[8:11], v34, s[12:13] offset:320
	global_load_dwordx4 v[12:15], v34, s[12:13] offset:336
	s_waitcnt vmcnt(1)
	v_mul_f64 v[16:17], v[41:42], v[10:11]
	v_mul_f64 v[10:11], v[39:40], v[10:11]
	v_fma_f64 v[111:112], v[39:40], v[8:9], v[16:17]
	v_fma_f64 v[113:114], v[41:42], v[8:9], -v[10:11]
	s_waitcnt vmcnt(0)
	v_mul_f64 v[8:9], v[20:21], v[14:15]
	v_add_f64 v[41:42], v[49:50], -v[51:52]
	v_add_f64 v[39:40], v[53:54], -v[59:60]
	v_fma_f64 v[115:116], v[18:19], v[12:13], v[8:9]
	v_mul_f64 v[8:9], v[18:19], v[14:15]
	v_fma_f64 v[117:118], v[20:21], v[12:13], -v[8:9]
	s_clause 0x1
	global_load_dwordx4 v[8:11], v34, s[12:13] offset:352
	global_load_dwordx4 v[12:15], v34, s[12:13] offset:368
	v_mov_b32_e32 v34, 0x960
	v_mul_u32_u24_sdwa v32, v32, v34 dst_sel:DWORD dst_unused:UNUSED_PAD src0_sel:WORD_0 src1_sel:DWORD
	v_add3_u32 v32, 0, v32, v33
	s_waitcnt vmcnt(1)
	v_mul_f64 v[16:17], v[28:29], v[10:11]
	v_mul_f64 v[10:11], v[26:27], v[10:11]
	v_fma_f64 v[119:120], v[26:27], v[8:9], v[16:17]
	v_fma_f64 v[121:122], v[28:29], v[8:9], -v[10:11]
	s_waitcnt vmcnt(0) lgkmcnt(0)
	v_mul_f64 v[8:9], v[24:25], v[14:15]
	v_add_f64 v[10:11], v[51:52], -v[57:58]
	v_add_f64 v[16:17], v[47:48], v[57:58]
	v_add_f64 v[28:29], v[30:31], -v[55:56]
	v_fma_f64 v[123:124], v[22:23], v[12:13], v[8:9]
	v_mul_f64 v[8:9], v[22:23], v[14:15]
	v_fma_f64 v[125:126], v[24:25], v[12:13], -v[8:9]
	v_add_f64 v[8:9], v[49:50], -v[47:48]
	v_add_f64 v[20:21], v[8:9], v[10:11]
	v_add_f64 v[8:9], v[30:31], -v[53:54]
	v_add_f64 v[10:11], v[55:56], -v[59:60]
	v_add_f64 v[22:23], v[8:9], v[10:11]
	ds_read_b128 v[8:11], v180
	ds_read_b128 v[12:15], v180 offset:1440
	s_waitcnt lgkmcnt(1)
	v_fma_f64 v[24:25], v[16:17], -0.5, v[8:9]
	v_add_f64 v[16:17], v[53:54], v[59:60]
	v_fma_f64 v[26:27], v[16:17], -0.5, v[10:11]
	v_fma_f64 v[16:17], v[28:29], s[14:15], v[24:25]
	v_fma_f64 v[24:25], v[28:29], s[8:9], v[24:25]
	;; [unrolled: 1-line block ×10, first 2 shown]
	v_add_f64 v[24:25], v[49:50], v[51:52]
	v_fma_f64 v[18:19], v[22:23], s[16:17], v[18:19]
	v_fma_f64 v[22:23], v[22:23], s[16:17], v[26:27]
	v_add_f64 v[26:27], v[30:31], v[55:56]
	v_fma_f64 v[24:25], v[24:25], -0.5, v[8:9]
	v_add_f64 v[8:9], v[8:9], v[47:48]
	v_add_f64 v[47:48], v[57:58], -v[51:52]
	v_fma_f64 v[26:27], v[26:27], -0.5, v[10:11]
	v_add_f64 v[10:11], v[10:11], v[53:54]
	v_add_f64 v[8:9], v[8:9], v[49:50]
	v_add_f64 v[49:50], v[59:60], -v[55:56]
	v_add_f64 v[10:11], v[10:11], v[30:31]
	v_add_f64 v[30:31], v[53:54], -v[30:31]
	v_add_f64 v[8:9], v[8:9], v[51:52]
	v_fma_f64 v[51:52], v[39:40], s[8:9], v[24:25]
	v_fma_f64 v[24:25], v[39:40], s[14:15], v[24:25]
	;; [unrolled: 1-line block ×4, first 2 shown]
	v_add_f64 v[43:44], v[45:46], v[47:48]
	v_add_f64 v[47:48], v[63:64], -v[67:68]
	v_add_f64 v[10:11], v[10:11], v[55:56]
	v_add_f64 v[30:31], v[30:31], v[49:50]
	;; [unrolled: 1-line block ×3, first 2 shown]
	v_fma_f64 v[45:46], v[28:29], s[4:5], v[51:52]
	v_fma_f64 v[28:29], v[28:29], s[6:7], v[24:25]
	;; [unrolled: 1-line block ×4, first 2 shown]
	v_add_f64 v[49:50], v[73:74], -v[69:70]
	v_add_f64 v[51:52], v[75:76], -v[71:72]
	v_add_f64 v[57:58], v[93:94], -v[105:106]
	v_add_f64 v[55:56], v[99:100], -v[103:104]
	v_add_f64 v[10:11], v[10:11], v[59:60]
	v_add_f64 v[59:60], v[97:98], -v[101:102]
	v_fma_f64 v[24:25], v[43:44], s[16:17], v[45:46]
	v_fma_f64 v[28:29], v[43:44], s[16:17], v[28:29]
	;; [unrolled: 1-line block ×4, first 2 shown]
	ds_read_b128 v[39:42], v180 offset:2880
	ds_read_b128 v[43:46], v180 offset:4320
	s_waitcnt lgkmcnt(0)
	s_barrier
	buffer_gl0_inv
	ds_write_b128 v32, v[8:11]
	ds_write_b128 v32, v[24:27] offset:480
	ds_write_b128 v32, v[16:19] offset:960
	;; [unrolled: 1-line block ×4, first 2 shown]
	v_add_f64 v[8:9], v[65:66], -v[61:62]
	v_add_f64 v[10:11], v[69:70], -v[73:74]
	;; [unrolled: 1-line block ×7, first 2 shown]
	v_add_f64 v[16:17], v[8:9], v[10:11]
	v_add_f64 v[8:9], v[67:68], -v[63:64]
	v_add_f64 v[10:11], v[71:72], -v[75:76]
	v_add_f64 v[18:19], v[8:9], v[10:11]
	v_add_f64 v[8:9], v[61:62], v[73:74]
	v_fma_f64 v[20:21], v[8:9], -0.5, v[12:13]
	v_add_f64 v[8:9], v[63:64], v[75:76]
	v_fma_f64 v[22:23], v[8:9], -0.5, v[14:15]
	v_fma_f64 v[8:9], v[24:25], s[14:15], v[20:21]
	v_fma_f64 v[20:21], v[24:25], s[8:9], v[20:21]
	;; [unrolled: 1-line block ×10, first 2 shown]
	v_add_f64 v[20:21], v[65:66], v[69:70]
	v_fma_f64 v[10:11], v[18:19], s[16:17], v[10:11]
	v_fma_f64 v[18:19], v[18:19], s[16:17], v[22:23]
	v_add_f64 v[22:23], v[67:68], v[71:72]
	v_fma_f64 v[20:21], v[20:21], -0.5, v[12:13]
	v_add_f64 v[12:13], v[12:13], v[61:62]
	v_add_f64 v[61:62], v[97:98], -v[93:94]
	v_fma_f64 v[22:23], v[22:23], -0.5, v[14:15]
	v_add_f64 v[14:15], v[14:15], v[63:64]
	v_fma_f64 v[53:54], v[26:27], s[8:9], v[20:21]
	v_add_f64 v[12:13], v[12:13], v[65:66]
	v_fma_f64 v[20:21], v[26:27], s[14:15], v[20:21]
	v_add_f64 v[63:64], v[99:100], -v[95:96]
	v_add_f64 v[65:66], v[101:102], -v[105:106]
	v_fma_f64 v[26:27], v[30:31], s[14:15], v[22:23]
	v_add_f64 v[14:15], v[14:15], v[67:68]
	v_fma_f64 v[22:23], v[30:31], s[8:9], v[22:23]
	v_add_f64 v[12:13], v[12:13], v[69:70]
	v_add_f64 v[30:31], v[32:33], v[49:50]
	;; [unrolled: 1-line block ×3, first 2 shown]
	v_fma_f64 v[47:48], v[24:25], s[4:5], v[53:54]
	v_fma_f64 v[24:25], v[24:25], s[6:7], v[20:21]
	v_add_f64 v[49:50], v[89:90], -v[85:86]
	v_add_f64 v[67:68], v[117:118], -v[121:122]
	;; [unrolled: 1-line block ×3, first 2 shown]
	v_fma_f64 v[26:27], v[28:29], s[6:7], v[26:27]
	v_add_f64 v[14:15], v[14:15], v[71:72]
	v_fma_f64 v[28:29], v[28:29], s[4:5], v[22:23]
	v_add_f64 v[12:13], v[12:13], v[73:74]
	v_add_f64 v[71:72], v[115:116], -v[119:120]
	v_fma_f64 v[20:21], v[30:31], s[16:17], v[47:48]
	v_fma_f64 v[24:25], v[30:31], s[16:17], v[24:25]
	v_add_f64 v[30:31], v[79:80], -v[91:92]
	v_add_f64 v[47:48], v[77:78], -v[89:90]
	v_fma_f64 v[22:23], v[32:33], s[16:17], v[26:27]
	v_add_f64 v[14:15], v[14:15], v[75:76]
	v_fma_f64 v[26:27], v[32:33], s[16:17], v[28:29]
	v_mul_u32_u24_sdwa v28, v107, v34 dst_sel:DWORD dst_unused:UNUSED_PAD src0_sel:WORD_0 src1_sel:DWORD
	v_lshlrev_b32_sdwa v29, v108, v127 dst_sel:DWORD dst_unused:UNUSED_PAD src0_sel:DWORD src1_sel:BYTE_0
	v_add_f64 v[32:33], v[81:82], -v[85:86]
	v_add_f64 v[75:76], v[117:118], -v[113:114]
	v_add3_u32 v28, 0, v28, v29
	ds_write_b128 v28, v[12:15]
	ds_write_b128 v28, v[20:23] offset:480
	ds_write_b128 v28, v[8:11] offset:960
	;; [unrolled: 1-line block ×4, first 2 shown]
	v_add_f64 v[8:9], v[81:82], -v[77:78]
	v_add_f64 v[10:11], v[85:86], -v[89:90]
	;; [unrolled: 1-line block ×3, first 2 shown]
	v_add_f64 v[14:15], v[79:80], v[91:92]
	v_add_f64 v[28:29], v[83:84], -v[87:88]
	v_add_f64 v[8:9], v[8:9], v[10:11]
	v_add_f64 v[10:11], v[83:84], -v[79:80]
	v_fma_f64 v[14:15], v[14:15], -0.5, v[41:42]
	v_add_f64 v[10:11], v[10:11], v[12:13]
	v_add_f64 v[12:13], v[77:78], v[89:90]
	v_fma_f64 v[18:19], v[32:33], s[8:9], v[14:15]
	v_fma_f64 v[14:15], v[32:33], s[14:15], v[14:15]
	v_fma_f64 v[12:13], v[12:13], -0.5, v[39:40]
	v_fma_f64 v[18:19], v[47:48], s[6:7], v[18:19]
	v_fma_f64 v[14:15], v[47:48], s[4:5], v[14:15]
	;; [unrolled: 1-line block ×5, first 2 shown]
	v_add_f64 v[14:15], v[41:42], v[79:80]
	v_fma_f64 v[18:19], v[10:11], s[16:17], v[18:19]
	v_add_f64 v[10:11], v[83:84], v[87:88]
	v_fma_f64 v[16:17], v[30:31], s[4:5], v[16:17]
	v_fma_f64 v[12:13], v[30:31], s[6:7], v[12:13]
	v_add_f64 v[14:15], v[14:15], v[83:84]
	v_fma_f64 v[10:11], v[10:11], -0.5, v[41:42]
	v_add_f64 v[41:42], v[79:80], -v[83:84]
	v_add_f64 v[79:80], v[121:122], -v[125:126]
	v_fma_f64 v[16:17], v[8:9], s[16:17], v[16:17]
	v_fma_f64 v[20:21], v[8:9], s[16:17], v[12:13]
	v_add_f64 v[12:13], v[39:40], v[77:78]
	v_add_f64 v[8:9], v[81:82], v[85:86]
	;; [unrolled: 1-line block ×4, first 2 shown]
	v_fma_f64 v[8:9], v[8:9], -0.5, v[39:40]
	v_add_f64 v[39:40], v[77:78], -v[81:82]
	v_add_f64 v[26:27], v[14:15], v[91:92]
	v_add_f64 v[77:78], v[119:120], -v[123:124]
	v_add_f64 v[12:13], v[12:13], v[85:86]
	v_fma_f64 v[14:15], v[30:31], s[8:9], v[8:9]
	v_fma_f64 v[8:9], v[30:31], s[14:15], v[8:9]
	;; [unrolled: 1-line block ×4, first 2 shown]
	v_add_f64 v[39:40], v[39:40], v[49:50]
	v_add_f64 v[24:25], v[12:13], v[89:90]
	v_add_f64 v[12:13], v[91:92], -v[87:88]
	v_fma_f64 v[14:15], v[28:29], s[4:5], v[14:15]
	v_fma_f64 v[8:9], v[28:29], s[6:7], v[8:9]
	;; [unrolled: 1-line block ×4, first 2 shown]
	v_add_f64 v[32:33], v[95:96], -v[109:110]
	v_add_f64 v[12:13], v[41:42], v[12:13]
	v_fma_f64 v[28:29], v[39:40], s[16:17], v[14:15]
	v_fma_f64 v[39:40], v[39:40], s[16:17], v[8:9]
	v_add_f64 v[8:9], v[93:94], -v[97:98]
	v_add_f64 v[14:15], v[99:100], v[103:104]
	v_fma_f64 v[41:42], v[12:13], s[16:17], v[10:11]
	v_add_f64 v[10:11], v[105:106], -v[101:102]
	v_fma_f64 v[30:31], v[12:13], s[16:17], v[30:31]
	v_add_f64 v[12:13], v[109:110], -v[103:104]
	v_fma_f64 v[14:15], v[14:15], -0.5, v[45:46]
	v_add_f64 v[8:9], v[8:9], v[10:11]
	v_add_f64 v[10:11], v[95:96], -v[99:100]
	v_fma_f64 v[49:50], v[57:58], s[14:15], v[14:15]
	v_fma_f64 v[14:15], v[57:58], s[8:9], v[14:15]
	v_add_f64 v[10:11], v[10:11], v[12:13]
	v_add_f64 v[12:13], v[97:98], v[101:102]
	v_fma_f64 v[49:50], v[59:60], s[6:7], v[49:50]
	v_fma_f64 v[14:15], v[59:60], s[4:5], v[14:15]
	v_fma_f64 v[12:13], v[12:13], -0.5, v[43:44]
	v_fma_f64 v[49:50], v[10:11], s[16:17], v[49:50]
	v_fma_f64 v[53:54], v[10:11], s[16:17], v[14:15]
	v_add_f64 v[14:15], v[45:46], v[95:96]
	v_add_f64 v[10:11], v[95:96], v[109:110]
	v_fma_f64 v[47:48], v[32:33], s[8:9], v[12:13]
	v_fma_f64 v[12:13], v[32:33], s[14:15], v[12:13]
	v_add_f64 v[14:15], v[14:15], v[99:100]
	v_fma_f64 v[10:11], v[10:11], -0.5, v[45:46]
	v_fma_f64 v[47:48], v[55:56], s[4:5], v[47:48]
	v_fma_f64 v[12:13], v[55:56], s[6:7], v[12:13]
	v_add_f64 v[14:15], v[14:15], v[103:104]
	v_fma_f64 v[47:48], v[8:9], s[16:17], v[47:48]
	v_fma_f64 v[51:52], v[8:9], s[16:17], v[12:13]
	v_add_f64 v[12:13], v[43:44], v[93:94]
	v_add_f64 v[8:9], v[93:94], v[105:106]
	;; [unrolled: 1-line block ×4, first 2 shown]
	v_fma_f64 v[8:9], v[8:9], -0.5, v[43:44]
	v_add_f64 v[12:13], v[12:13], v[101:102]
	v_fma_f64 v[14:15], v[55:56], s[14:15], v[8:9]
	v_fma_f64 v[8:9], v[55:56], s[8:9], v[8:9]
	;; [unrolled: 1-line block ×4, first 2 shown]
	v_add_f64 v[59:60], v[61:62], v[65:66]
	v_add_f64 v[65:66], v[113:114], -v[125:126]
	v_add_f64 v[43:44], v[12:13], v[105:106]
	v_add_f64 v[12:13], v[103:104], -v[109:110]
	v_fma_f64 v[14:15], v[32:33], s[4:5], v[14:15]
	v_fma_f64 v[8:9], v[32:33], s[6:7], v[8:9]
	;; [unrolled: 1-line block ×4, first 2 shown]
	v_add_f64 v[12:13], v[63:64], v[12:13]
	v_fma_f64 v[55:56], v[59:60], s[16:17], v[14:15]
	v_fma_f64 v[59:60], v[59:60], s[16:17], v[8:9]
	v_add_f64 v[8:9], v[111:112], -v[115:116]
	v_fma_f64 v[61:62], v[12:13], s[16:17], v[10:11]
	v_add_f64 v[10:11], v[123:124], -v[119:120]
	;; [unrolled: 2-line block ×3, first 2 shown]
	v_add_f64 v[8:9], v[8:9], v[10:11]
	v_add_f64 v[10:11], v[113:114], -v[117:118]
	v_add_f64 v[10:11], v[10:11], v[12:13]
	v_add_f64 v[12:13], v[115:116], v[119:120]
	v_fma_f64 v[32:33], v[12:13], -0.5, v[35:36]
	v_add_f64 v[12:13], v[117:118], v[121:122]
	v_fma_f64 v[63:64], v[12:13], -0.5, v[37:38]
	v_fma_f64 v[12:13], v[65:66], s[8:9], v[32:33]
	v_fma_f64 v[32:33], v[65:66], s[14:15], v[32:33]
	;; [unrolled: 1-line block ×10, first 2 shown]
	v_add_f64 v[32:33], v[111:112], v[123:124]
	v_fma_f64 v[14:15], v[10:11], s[16:17], v[14:15]
	v_fma_f64 v[10:11], v[10:11], s[16:17], v[63:64]
	v_fma_f64 v[63:64], v[32:33], -0.5, v[35:36]
	v_add_f64 v[32:33], v[113:114], v[125:126]
	v_fma_f64 v[81:82], v[67:68], s[14:15], v[63:64]
	v_fma_f64 v[73:74], v[32:33], -0.5, v[37:38]
	v_add_f64 v[32:33], v[35:36], v[111:112]
	v_add_f64 v[34:35], v[37:38], v[113:114]
	v_add_f64 v[36:37], v[115:116], -v[111:112]
	v_fma_f64 v[63:64], v[67:68], s[8:9], v[63:64]
	v_fma_f64 v[67:68], v[71:72], s[8:9], v[73:74]
	v_add_f64 v[32:33], v[32:33], v[115:116]
	v_add_f64 v[34:35], v[34:35], v[117:118]
	v_fma_f64 v[71:72], v[71:72], s[14:15], v[73:74]
	v_add_f64 v[36:37], v[36:37], v[77:78]
	v_add_f64 v[73:74], v[75:76], v[79:80]
	v_fma_f64 v[75:76], v[65:66], s[4:5], v[81:82]
	v_fma_f64 v[77:78], v[65:66], s[6:7], v[63:64]
	;; [unrolled: 1-line block ×3, first 2 shown]
	v_add_f64 v[32:33], v[32:33], v[119:120]
	v_add_f64 v[34:35], v[34:35], v[121:122]
	v_fma_f64 v[69:70], v[69:70], s[4:5], v[71:72]
	v_fma_f64 v[63:64], v[36:37], s[16:17], v[75:76]
	;; [unrolled: 1-line block ×3, first 2 shown]
	v_mul_u32_u24_e32 v36, 0x960, v128
	v_lshlrev_b32_sdwa v37, v108, v129 dst_sel:DWORD dst_unused:UNUSED_PAD src0_sel:DWORD src1_sel:WORD_0
	v_add3_u32 v36, 0, v36, v37
	ds_write_b128 v36, v[24:27]
	ds_write_b128 v36, v[28:31] offset:480
	ds_write_b128 v36, v[16:19] offset:960
	v_lshlrev_b32_sdwa v16, v108, v131 dst_sel:DWORD dst_unused:UNUSED_PAD src0_sel:DWORD src1_sel:WORD_0
	v_mul_u32_u24_e32 v18, 0x960, v130
	v_fma_f64 v[65:66], v[73:74], s[16:17], v[65:66]
	v_add_f64 v[32:33], v[32:33], v[123:124]
	v_add_f64 v[34:35], v[34:35], v[125:126]
	v_fma_f64 v[69:70], v[73:74], s[16:17], v[69:70]
	v_lshlrev_b32_sdwa v17, v108, v133 dst_sel:DWORD dst_unused:UNUSED_PAD src0_sel:DWORD src1_sel:WORD_0
	v_mul_u32_u24_e32 v19, 0x960, v132
	v_add3_u32 v16, 0, v18, v16
	v_add3_u32 v17, 0, v19, v17
	ds_write_b128 v36, v[20:23] offset:1440
	ds_write_b128 v36, v[39:42] offset:1920
	ds_write_b128 v16, v[43:46]
	ds_write_b128 v16, v[47:50] offset:480
	ds_write_b128 v16, v[55:58] offset:960
	;; [unrolled: 1-line block ×4, first 2 shown]
	ds_write_b128 v17, v[32:35]
	ds_write_b128 v17, v[12:15] offset:480
	ds_write_b128 v17, v[63:66] offset:960
	;; [unrolled: 1-line block ×4, first 2 shown]
	s_waitcnt lgkmcnt(0)
	s_barrier
	buffer_gl0_inv
	ds_read_b128 v[12:15], v180 offset:1440
	ds_read_b128 v[28:31], v180 offset:2880
	;; [unrolled: 1-line block ×22, first 2 shown]
	ds_read_b128 v[40:43], v180
	ds_read_b128 v[88:91], v180 offset:34080
	s_and_saveexec_b32 s1, s0
	s_cbranch_execz .LBB0_29
; %bb.28:
	ds_read_b128 v[0:3], v180 offset:23520
	ds_read_b128 v[8:11], v180 offset:11520
	;; [unrolled: 1-line block ×3, first 2 shown]
.LBB0_29:
	s_or_b32 exec_lo, exec_lo, s1
	v_lshlrev_b32_e32 v178, 1, v174
	v_subrev_nc_u32_e32 v108, 60, v174
	v_mov_b32_e32 v179, 0
	v_cmp_gt_u32_e64 s1, 60, v174
	v_lshrrev_b16 v116, 1, v182
	v_mov_b32_e32 v185, 0xda75
	v_lshrrev_b16 v127, 1, v175
	v_mov_b32_e32 v111, v179
	v_cndmask_b32_e64 v186, v108, v183, s1
	v_lshlrev_b64 v[108:109], 4, v[178:179]
	v_mul_u32_u24_sdwa v116, v116, v185 dst_sel:DWORD dst_unused:UNUSED_PAD src0_sel:WORD_0 src1_sel:DWORD
	v_add_nc_u32_e32 v178, 60, v178
	v_mov_b32_e32 v150, 5
	v_lshlrev_b32_e32 v110, 1, v186
	v_lshrrev_b16 v152, 1, v149
	v_add_co_u32 v112, s1, s12, v108
	v_add_co_ci_u32_e64 v113, s1, s13, v109, s1
	v_lshlrev_b64 v[108:109], 4, v[110:111]
	v_add_co_u32 v110, s1, 0x8c0, v112
	v_add_co_ci_u32_e64 v111, s1, 0, v113, s1
	v_add_co_u32 v112, s1, 0x800, v112
	v_add_co_ci_u32_e64 v113, s1, 0, v113, s1
	v_add_co_u32 v114, s1, s12, v108
	v_lshrrev_b32_e32 v187, 22, v116
	v_add_co_ci_u32_e64 v115, s1, s13, v109, s1
	v_add_co_u32 v108, s1, 0x8c0, v114
	v_lshlrev_b64 v[124:125], 4, v[178:179]
	v_mul_lo_u16 v126, 0x96, v187
	v_add_co_ci_u32_e64 v109, s1, 0, v115, s1
	v_add_co_u32 v114, s1, 0x800, v114
	v_add_co_ci_u32_e64 v115, s1, 0, v115, s1
	v_sub_nc_u16 v178, v182, v126
	v_mul_u32_u24_sdwa v126, v127, v185 dst_sel:DWORD dst_unused:UNUSED_PAD src0_sel:WORD_0 src1_sel:DWORD
	v_add_co_u32 v128, s1, s12, v124
	v_add_co_ci_u32_e64 v129, s1, s13, v125, s1
	v_lshrrev_b32_e32 v131, 22, v126
	v_add_co_u32 v124, s1, 0x8c0, v128
	v_lshlrev_b32_sdwa v130, v150, v178 dst_sel:DWORD dst_unused:UNUSED_PAD src0_sel:DWORD src1_sel:WORD_0
	v_add_co_ci_u32_e64 v125, s1, 0, v129, s1
	v_add_co_u32 v126, s1, 0x800, v128
	v_mul_lo_u16 v128, 0x96, v131
	v_add_co_ci_u32_e64 v127, s1, 0, v129, s1
	v_add_co_u32 v129, s1, s12, v130
	v_add_co_ci_u32_e64 v130, null, s13, 0, s1
	v_sub_nc_u16 v128, v175, v128
	v_lshrrev_b16 v131, 1, v140
	v_add_co_u32 v141, s1, 0x8c0, v129
	v_add_co_ci_u32_e64 v142, s1, 0, v130, s1
	v_and_b32_e32 v188, 0xffff, v128
	v_add_co_u32 v128, s1, 0x800, v129
	v_mul_u32_u24_sdwa v131, v131, v185 dst_sel:DWORD dst_unused:UNUSED_PAD src0_sel:WORD_0 src1_sel:DWORD
	v_add_co_ci_u32_e64 v129, s1, 0, v130, s1
	s_clause 0x3
	global_load_dwordx4 v[120:123], v[112:113], off offset:192
	global_load_dwordx4 v[116:119], v[110:111], off offset:16
	global_load_dwordx4 v[112:115], v[114:115], off offset:192
	global_load_dwordx4 v[108:111], v[108:109], off offset:16
	v_lshrrev_b32_e32 v143, 22, v131
	s_clause 0x3
	global_load_dwordx4 v[136:139], v[126:127], off offset:192
	global_load_dwordx4 v[132:135], v[124:125], off offset:16
	;; [unrolled: 1-line block ×4, first 2 shown]
	v_lshrrev_b16 v142, 1, v148
	v_lshlrev_b32_e32 v144, 5, v188
	v_mul_lo_u16 v141, 0x96, v143
	v_mov_b32_e32 v193, 4
	v_lshlrev_b32_e32 v186, 4, v186
	v_mul_u32_u24_sdwa v142, v142, v185 dst_sel:DWORD dst_unused:UNUSED_PAD src0_sel:WORD_0 src1_sel:DWORD
	v_add_co_u32 v143, s1, s12, v144
	v_sub_nc_u16 v145, v140, v141
	v_add_co_ci_u32_e64 v144, null, s13, 0, s1
	v_lshrrev_b32_e32 v190, 22, v142
	v_add_co_u32 v140, s1, 0x800, v143
	v_and_b32_e32 v189, 0xffff, v145
	v_add_co_ci_u32_e64 v141, s1, 0, v144, s1
	v_mul_lo_u16 v151, 0x96, v190
	v_add_co_u32 v142, s1, 0x8c0, v143
	v_lshlrev_b32_e32 v153, 5, v189
	v_add_co_ci_u32_e64 v143, s1, 0, v144, s1
	v_sub_nc_u16 v191, v148, v151
	v_mul_u32_u24_sdwa v148, v152, v185 dst_sel:DWORD dst_unused:UNUSED_PAD src0_sel:WORD_0 src1_sel:DWORD
	v_add_co_u32 v154, s1, s12, v153
	v_add_co_ci_u32_e64 v155, null, s13, 0, s1
	v_lshrrev_b32_e32 v148, 22, v148
	v_lshlrev_b32_sdwa v150, v150, v191 dst_sel:DWORD dst_unused:UNUSED_PAD src0_sel:DWORD src1_sel:WORD_0
	v_add_co_u32 v152, s1, 0x8c0, v154
	v_add_co_ci_u32_e64 v153, s1, 0, v155, s1
	v_mul_lo_u16 v148, 0x96, v148
	v_add_co_u32 v150, s1, s12, v150
	v_add_co_ci_u32_e64 v151, null, s13, 0, s1
	v_sub_nc_u16 v156, v149, v148
	v_add_co_u32 v148, s1, 0x8c0, v150
	v_add_co_ci_u32_e64 v149, s1, 0, v151, s1
	v_and_b32_e32 v192, 0xffff, v156
	v_add_co_u32 v150, s1, 0x800, v150
	v_add_co_ci_u32_e64 v151, s1, 0, v151, s1
	v_lshlrev_b32_e32 v164, 5, v192
	v_add_co_u32 v154, s1, 0x800, v154
	v_add_co_ci_u32_e64 v155, s1, 0, v155, s1
	v_add_co_u32 v166, s1, s12, v164
	v_add_co_ci_u32_e64 v167, null, s13, 0, s1
	s_clause 0x1
	global_load_dwordx4 v[144:147], v[140:141], off offset:192
	global_load_dwordx4 v[140:143], v[142:143], off offset:16
	v_add_co_u32 v164, s1, 0x800, v166
	v_add_co_ci_u32_e64 v165, s1, 0, v167, s1
	v_add_co_u32 v168, s1, 0x8c0, v166
	s_clause 0x1
	global_load_dwordx4 v[160:163], v[150:151], off offset:192
	global_load_dwordx4 v[156:159], v[148:149], off offset:16
	v_add_co_ci_u32_e64 v169, s1, 0, v167, s1
	s_clause 0x3
	global_load_dwordx4 v[148:151], v[154:155], off offset:192
	global_load_dwordx4 v[152:155], v[152:153], off offset:16
	;; [unrolled: 1-line block ×4, first 2 shown]
	v_cmp_lt_u32_e64 s1, 59, v174
	v_mul_u32_u24_e32 v187, 0x1c20, v187
	v_lshlrev_b32_sdwa v178, v193, v178 dst_sel:DWORD dst_unused:UNUSED_PAD src0_sel:DWORD src1_sel:WORD_0
	v_lshl_add_u32 v207, v188, 4, 0
	v_lshl_add_u32 v208, v189, 4, 0
	v_cndmask_b32_e64 v194, 0, 0x1c20, s1
	v_mul_u32_u24_e32 v190, 0x1c20, v190
	v_add3_u32 v178, 0, v187, v178
	v_lshlrev_b32_sdwa v191, v193, v191 dst_sel:DWORD dst_unused:UNUSED_PAD src0_sel:DWORD src1_sel:WORD_0
	v_lshl_add_u32 v210, v192, 4, 0
	v_add3_u32 v206, 0, v194, v186
	s_mov_b32 s4, 0xe8584caa
	s_mov_b32 s5, 0xbfebb67a
	v_add3_u32 v209, 0, v190, v191
	s_mov_b32 s7, 0x3febb67a
	s_mov_b32 s6, s4
	s_waitcnt vmcnt(0) lgkmcnt(0)
	s_barrier
	buffer_gl0_inv
	v_mul_f64 v[186:187], v[102:103], v[122:123]
	v_mul_f64 v[122:123], v[100:101], v[122:123]
	;; [unrolled: 1-line block ×16, first 2 shown]
	v_fma_f64 v[100:101], v[100:101], v[120:121], v[186:187]
	v_fma_f64 v[102:103], v[102:103], v[120:121], -v[122:123]
	v_fma_f64 v[104:105], v[104:105], v[116:117], v[188:189]
	v_fma_f64 v[106:107], v[106:107], v[116:117], -v[118:119]
	;; [unrolled: 2-line block ×8, first 2 shown]
	v_add_f64 v[108:109], v[40:41], v[100:101]
	v_add_f64 v[114:115], v[42:43], v[102:103]
	;; [unrolled: 1-line block ×3, first 2 shown]
	v_add_f64 v[112:113], v[102:103], -v[106:107]
	v_add_f64 v[102:103], v[102:103], v[106:107]
	v_add_f64 v[126:127], v[30:31], v[70:71]
	;; [unrolled: 1-line block ×5, first 2 shown]
	v_add_f64 v[132:133], v[54:55], -v[58:59]
	v_add_f64 v[54:55], v[54:55], v[58:59]
	v_add_f64 v[124:125], v[70:71], -v[74:75]
	v_add_f64 v[70:71], v[70:71], v[74:75]
	;; [unrolled: 2-line block ×3, first 2 shown]
	v_add_f64 v[138:139], v[76:77], v[80:81]
	v_add_f64 v[100:101], v[100:101], -v[104:105]
	v_add_f64 v[76:77], v[76:77], -v[80:81]
	v_mul_f64 v[116:117], v[46:47], v[146:147]
	v_mul_f64 v[118:119], v[44:45], v[146:147]
	;; [unrolled: 1-line block ×4, first 2 shown]
	v_fma_f64 v[102:103], v[102:103], -0.5, v[42:43]
	v_mul_f64 v[202:203], v[94:95], v[162:163]
	v_mul_f64 v[204:205], v[98:99], v[158:159]
	;; [unrolled: 1-line block ×12, first 2 shown]
	v_add_f64 v[42:43], v[126:127], v[74:75]
	v_fma_f64 v[74:75], v[54:55], -0.5, v[14:15]
	v_fma_f64 v[70:71], v[70:71], -0.5, v[30:31]
	v_fma_f64 v[116:117], v[44:45], v[144:145], v[116:117]
	v_fma_f64 v[118:119], v[46:47], v[144:145], -v[118:119]
	v_fma_f64 v[120:121], v[48:49], v[140:141], v[120:121]
	v_fma_f64 v[122:123], v[50:51], v[140:141], -v[122:123]
	v_add_f64 v[140:141], v[78:79], -v[82:83]
	v_add_f64 v[46:47], v[114:115], v[106:107]
	v_add_f64 v[44:45], v[108:109], v[104:105]
	v_fma_f64 v[92:93], v[92:93], v[160:161], v[202:203]
	v_fma_f64 v[96:97], v[96:97], v[156:157], v[204:205]
	v_fma_f64 v[94:95], v[94:95], v[160:161], -v[162:163]
	v_fma_f64 v[98:99], v[98:99], v[156:157], -v[158:159]
	v_fma_f64 v[48:49], v[60:61], v[148:149], v[142:143]
	v_fma_f64 v[50:51], v[62:63], v[148:149], -v[146:147]
	v_fma_f64 v[60:61], v[64:65], v[152:153], v[150:151]
	;; [unrolled: 2-line block ×4, first 2 shown]
	v_fma_f64 v[86:87], v[90:91], v[168:169], -v[170:171]
	v_add_f64 v[88:89], v[28:29], v[68:69]
	v_add_f64 v[90:91], v[68:69], v[72:73]
	;; [unrolled: 1-line block ×4, first 2 shown]
	v_add_f64 v[68:69], v[68:69], -v[72:73]
	v_add_f64 v[106:107], v[116:117], v[120:121]
	v_add_f64 v[114:115], v[118:119], v[122:123]
	v_add_f64 v[108:109], v[118:119], -v[122:123]
	v_add_f64 v[104:105], v[16:17], v[116:117]
	v_add_f64 v[116:117], v[116:117], -v[120:121]
	v_add_f64 v[144:145], v[36:37], v[92:93]
	v_add_f64 v[146:147], v[92:93], v[96:97]
	;; [unrolled: 1-line block ×3, first 2 shown]
	v_add_f64 v[148:149], v[94:95], -v[98:99]
	v_add_f64 v[94:95], v[94:95], v[98:99]
	v_add_f64 v[152:153], v[92:93], -v[96:97]
	v_fma_f64 v[92:93], v[110:111], -0.5, v[40:41]
	v_add_f64 v[154:155], v[48:49], v[60:61]
	v_add_f64 v[160:161], v[50:51], v[62:63]
	;; [unrolled: 1-line block ×4, first 2 shown]
	v_add_f64 v[168:169], v[66:67], -v[86:87]
	v_add_f64 v[66:67], v[66:67], v[86:87]
	v_add_f64 v[40:41], v[88:89], v[72:73]
	v_fma_f64 v[72:73], v[130:131], -0.5, v[12:13]
	v_add_f64 v[110:111], v[18:19], v[118:119]
	v_add_f64 v[118:119], v[20:21], v[48:49]
	;; [unrolled: 1-line block ×4, first 2 shown]
	v_add_f64 v[186:187], v[64:65], -v[84:85]
	v_fma_f64 v[64:65], v[90:91], -0.5, v[28:29]
	v_add_f64 v[12:13], v[52:53], v[80:81]
	v_fma_f64 v[80:81], v[138:139], -0.5, v[24:25]
	v_fma_f64 v[78:79], v[78:79], -0.5, v[26:27]
	v_add_f64 v[14:15], v[142:143], v[82:83]
	v_fma_f64 v[82:83], v[146:147], -0.5, v[36:37]
	v_fma_f64 v[88:89], v[106:107], -0.5, v[16:17]
	;; [unrolled: 1-line block ×3, first 2 shown]
	v_add_f64 v[156:157], v[50:51], -v[62:63]
	v_add_f64 v[162:163], v[48:49], -v[60:61]
	v_add_f64 v[24:25], v[144:145], v[96:97]
	v_fma_f64 v[96:97], v[94:95], -0.5, v[38:39]
	v_fma_f64 v[36:37], v[112:113], s[4:5], v[92:93]
	v_fma_f64 v[48:49], v[112:113], s[6:7], v[92:93]
	v_fma_f64 v[92:93], v[154:155], -0.5, v[20:21]
	v_fma_f64 v[94:95], v[160:161], -0.5, v[22:23]
	v_add_f64 v[26:27], v[150:151], v[98:99]
	v_fma_f64 v[38:39], v[100:101], s[6:7], v[102:103]
	v_fma_f64 v[50:51], v[100:101], s[4:5], v[102:103]
	v_fma_f64 v[98:99], v[166:167], -0.5, v[32:33]
	v_fma_f64 v[100:101], v[66:67], -0.5, v[34:35]
	v_add_f64 v[28:29], v[128:129], v[56:57]
	v_add_f64 v[30:31], v[134:135], v[58:59]
	v_fma_f64 v[56:57], v[132:133], s[4:5], v[72:73]
	v_fma_f64 v[58:59], v[136:137], s[6:7], v[74:75]
	v_add_f64 v[16:17], v[118:119], v[60:61]
	v_add_f64 v[18:19], v[158:159], v[62:63]
	v_fma_f64 v[60:61], v[132:133], s[6:7], v[72:73]
	v_fma_f64 v[62:63], v[136:137], s[4:5], v[74:75]
	;; [unrolled: 1-line block ×10, first 2 shown]
	ds_write_b128 v180, v[44:47]
	v_add_f64 v[44:45], v[104:105], v[120:121]
	v_add_f64 v[46:47], v[110:111], v[122:123]
	v_fma_f64 v[72:73], v[148:149], s[4:5], v[82:83]
	v_fma_f64 v[76:77], v[148:149], s[6:7], v[82:83]
	v_fma_f64 v[80:81], v[108:109], s[4:5], v[88:89]
	v_fma_f64 v[82:83], v[116:117], s[6:7], v[90:91]
	v_add_f64 v[20:21], v[164:165], v[84:85]
	v_add_f64 v[22:23], v[170:171], v[86:87]
	v_fma_f64 v[84:85], v[108:109], s[6:7], v[88:89]
	v_fma_f64 v[86:87], v[116:117], s[4:5], v[90:91]
	;; [unrolled: 1-line block ×8, first 2 shown]
	ds_write_b128 v180, v[36:39] offset:2400
	v_fma_f64 v[36:37], v[168:169], s[4:5], v[98:99]
	v_fma_f64 v[38:39], v[186:187], s[6:7], v[100:101]
	;; [unrolled: 1-line block ×4, first 2 shown]
	ds_write_b128 v180, v[48:51] offset:4800
	ds_write_b128 v206, v[28:31]
	ds_write_b128 v206, v[56:59] offset:2400
	ds_write_b128 v206, v[60:63] offset:4800
	;; [unrolled: 1-line block ×5, first 2 shown]
	ds_write_b128 v178, v[12:15]
	ds_write_b128 v178, v[64:67] offset:2400
	ds_write_b128 v178, v[68:71] offset:4800
	;; [unrolled: 1-line block ×8, first 2 shown]
	ds_write_b128 v209, v[24:27]
	ds_write_b128 v209, v[72:75] offset:2400
	ds_write_b128 v209, v[76:79] offset:4800
	;; [unrolled: 1-line block ×5, first 2 shown]
	s_and_saveexec_b32 s1, s0
	s_cbranch_execz .LBB0_31
; %bb.30:
	v_lshrrev_b16 v12, 1, v184
	v_mul_u32_u24_sdwa v12, v12, v185 dst_sel:DWORD dst_unused:UNUSED_PAD src0_sel:WORD_0 src1_sel:DWORD
	v_lshrrev_b32_e32 v12, 22, v12
	v_mul_lo_u16 v12, 0x96, v12
	v_sub_nc_u16 v12, v184, v12
	v_and_b32_e32 v24, 0xffff, v12
	v_lshlrev_b32_e32 v12, 5, v24
	v_add_co_u32 v14, s0, s12, v12
	v_add_co_ci_u32_e64 v15, null, s13, 0, s0
	v_add_co_u32 v12, s0, 0x800, v14
	v_add_co_ci_u32_e64 v13, s0, 0, v15, s0
	v_add_co_u32 v16, s0, 0x8c0, v14
	v_add_co_ci_u32_e64 v17, s0, 0, v15, s0
	s_clause 0x1
	global_load_dwordx4 v[12:15], v[12:13], off offset:192
	global_load_dwordx4 v[16:19], v[16:17], off offset:16
	s_waitcnt vmcnt(1)
	v_mul_f64 v[20:21], v[0:1], v[14:15]
	s_waitcnt vmcnt(0)
	v_mul_f64 v[22:23], v[4:5], v[18:19]
	v_mul_f64 v[14:15], v[2:3], v[14:15]
	;; [unrolled: 1-line block ×3, first 2 shown]
	v_fma_f64 v[2:3], v[2:3], v[12:13], -v[20:21]
	v_fma_f64 v[6:7], v[6:7], v[16:17], -v[22:23]
	v_fma_f64 v[0:1], v[0:1], v[12:13], v[14:15]
	v_fma_f64 v[4:5], v[4:5], v[16:17], v[18:19]
	v_add_f64 v[18:19], v[10:11], v[2:3]
	v_add_f64 v[12:13], v[2:3], v[6:7]
	;; [unrolled: 1-line block ×3, first 2 shown]
	v_add_f64 v[16:17], v[0:1], -v[4:5]
	v_add_f64 v[0:1], v[8:9], v[0:1]
	v_fma_f64 v[10:11], v[12:13], -0.5, v[10:11]
	v_add_f64 v[12:13], v[2:3], -v[6:7]
	v_fma_f64 v[14:15], v[14:15], -0.5, v[8:9]
	v_add_f64 v[2:3], v[18:19], v[6:7]
	v_add_f64 v[0:1], v[0:1], v[4:5]
	v_fma_f64 v[6:7], v[16:17], s[4:5], v[10:11]
	v_fma_f64 v[10:11], v[16:17], s[6:7], v[10:11]
	;; [unrolled: 1-line block ×4, first 2 shown]
	v_lshl_add_u32 v12, v24, 4, 0
	ds_write_b128 v12, v[0:3] offset:28800
	ds_write_b128 v12, v[8:11] offset:31200
	ds_write_b128 v12, v[4:7] offset:33600
.LBB0_31:
	s_or_b32 exec_lo, exec_lo, s1
	v_lshlrev_b32_e32 v178, 2, v174
	s_waitcnt lgkmcnt(0)
	s_barrier
	buffer_gl0_inv
	s_mov_b32 s4, 0x4755a5e
	v_lshlrev_b64 v[0:1], 4, v[178:179]
	v_lshlrev_b32_e32 v178, 2, v183
	s_mov_b32 s5, 0xbfe2cf23
	s_mov_b32 s7, 0x3fe2cf23
	;; [unrolled: 1-line block ×3, first 2 shown]
	v_add_co_u32 v2, s0, s12, v0
	v_add_co_ci_u32_e64 v3, s0, s13, v1, s0
	v_lshlrev_b64 v[0:1], 4, v[178:179]
	v_add_co_u32 v8, s0, 0x1b80, v2
	v_add_co_ci_u32_e64 v9, s0, 0, v3, s0
	v_add_co_u32 v2, s0, 0x1800, v2
	v_add_co_ci_u32_e64 v3, s0, 0, v3, s0
	v_add_co_u32 v12, s0, s12, v0
	v_lshlrev_b32_e32 v178, 2, v181
	v_add_co_ci_u32_e64 v13, s0, s13, v1, s0
	v_add_co_u32 v10, s0, 0x1800, v12
	v_lshlrev_b64 v[32:33], 4, v[178:179]
	v_add_co_ci_u32_e64 v11, s0, 0, v13, s0
	v_add_co_u32 v24, s0, 0x1b80, v12
	v_add_co_ci_u32_e64 v25, s0, 0, v13, s0
	v_add_co_u32 v36, s0, s12, v32
	v_lshlrev_b32_e32 v178, 2, v182
	v_add_co_ci_u32_e64 v37, s0, s13, v33, s0
	v_add_co_u32 v32, s0, 0x1b80, v36
	v_lshlrev_b64 v[34:35], 4, v[178:179]
	v_add_co_ci_u32_e64 v33, s0, 0, v37, s0
	v_add_co_u32 v36, s0, 0x1800, v36
	v_add_co_ci_u32_e64 v37, s0, 0, v37, s0
	v_add_co_u32 v38, s0, s12, v34
	v_add_co_ci_u32_e64 v39, s0, s13, v35, s0
	v_lshlrev_b32_e32 v178, 2, v175
	v_add_co_u32 v34, s0, 0x1800, v38
	v_add_co_ci_u32_e64 v35, s0, 0, v39, s0
	s_clause 0x9
	global_load_dwordx4 v[4:7], v[2:3], off offset:896
	global_load_dwordx4 v[0:3], v[8:9], off offset:48
	;; [unrolled: 1-line block ×10, first 2 shown]
	v_add_co_u32 v36, s0, 0x1b80, v38
	v_add_co_ci_u32_e64 v37, s0, 0, v39, s0
	v_lshlrev_b64 v[38:39], 4, v[178:179]
	s_clause 0x5
	global_load_dwordx4 v[72:75], v[32:33], off offset:32
	global_load_dwordx4 v[80:83], v[32:33], off offset:16
	;; [unrolled: 1-line block ×6, first 2 shown]
	v_add_co_u32 v34, s0, s12, v38
	v_add_co_ci_u32_e64 v35, s0, s13, v39, s0
	s_mov_b32 s13, 0x3fee6f0e
	v_add_co_u32 v32, s0, 0x1800, v34
	v_add_co_ci_u32_e64 v33, s0, 0, v35, s0
	v_add_co_u32 v34, s0, 0x1b80, v34
	v_add_co_ci_u32_e64 v35, s0, 0, v35, s0
	s_clause 0x3
	global_load_dwordx4 v[84:87], v[32:33], off offset:896
	global_load_dwordx4 v[96:99], v[34:35], off offset:16
	;; [unrolled: 1-line block ×4, first 2 shown]
	ds_read_b128 v[52:55], v180
	ds_read_b128 v[40:43], v180 offset:1440
	ds_read_b128 v[168:171], v180 offset:14400
	ds_read_b128 v[136:139], v180 offset:15840
	ds_read_b128 v[160:163], v180 offset:28800
	ds_read_b128 v[128:131], v180 offset:30240
	ds_read_b128 v[164:167], v180 offset:8640
	ds_read_b128 v[132:135], v180 offset:10080
	ds_read_b128 v[156:159], v180 offset:23040
	ds_read_b128 v[124:127], v180 offset:24480
	ds_read_b128 v[116:119], v180 offset:31680
	ds_read_b128 v[44:47], v180 offset:2880
	ds_read_b128 v[36:39], v180 offset:4320
	ds_read_b128 v[152:155], v180 offset:17280
	ds_read_b128 v[120:123], v180 offset:18720
	ds_read_b128 v[181:184], v180 offset:7200
	ds_read_b128 v[32:35], v180 offset:5760
	ds_read_b128 v[140:143], v180 offset:11520
	ds_read_b128 v[100:103], v180 offset:12960
	ds_read_b128 v[185:188], v180 offset:21600
	ds_read_b128 v[104:107], v180 offset:20160
	ds_read_b128 v[144:147], v180 offset:25920
	ds_read_b128 v[108:111], v180 offset:27360
	ds_read_b128 v[148:151], v180 offset:33120
	ds_read_b128 v[112:115], v180 offset:34560
	s_mov_b32 s12, s8
	s_mov_b32 s0, 0x372fe950
	s_mov_b32 s1, 0x3fd3c6ef
	s_waitcnt vmcnt(0) lgkmcnt(0)
	s_barrier
	buffer_gl0_inv
	v_mul_f64 v[178:179], v[183:184], v[6:7]
	v_mul_f64 v[6:7], v[181:182], v[6:7]
	v_mul_f64 v[189:190], v[170:171], v[30:31]
	v_mul_f64 v[30:31], v[168:169], v[30:31]
	v_mul_f64 v[191:192], v[187:188], v[18:19]
	v_mul_f64 v[18:19], v[185:186], v[18:19]
	v_mul_f64 v[193:194], v[162:163], v[2:3]
	v_mul_f64 v[2:3], v[160:161], v[2:3]
	v_mul_f64 v[195:196], v[166:167], v[22:23]
	v_mul_f64 v[22:23], v[164:165], v[22:23]
	v_mul_f64 v[197:198], v[138:139], v[26:27]
	v_mul_f64 v[26:27], v[136:137], v[26:27]
	v_mul_f64 v[199:200], v[158:159], v[14:15]
	v_mul_f64 v[14:15], v[156:157], v[14:15]
	v_mul_f64 v[201:202], v[130:131], v[10:11]
	v_mul_f64 v[10:11], v[128:129], v[10:11]
	v_mul_f64 v[203:204], v[134:135], v[58:59]
	v_mul_f64 v[58:59], v[132:133], v[58:59]
	v_mul_f64 v[205:206], v[154:155], v[82:83]
	v_mul_f64 v[82:83], v[152:153], v[82:83]
	v_mul_f64 v[207:208], v[126:127], v[74:75]
	v_mul_f64 v[74:75], v[124:125], v[74:75]
	v_mul_f64 v[209:210], v[118:119], v[50:51]
	v_mul_f64 v[50:51], v[116:117], v[50:51]
	v_mul_f64 v[211:212], v[142:143], v[66:67]
	v_mul_f64 v[66:67], v[140:141], v[66:67]
	v_mul_f64 v[213:214], v[122:123], v[78:79]
	v_mul_f64 v[78:79], v[120:121], v[78:79]
	v_mul_f64 v[215:216], v[146:147], v[70:71]
	v_mul_f64 v[70:71], v[144:145], v[70:71]
	v_mul_f64 v[217:218], v[150:151], v[62:63]
	v_mul_f64 v[62:63], v[148:149], v[62:63]
	v_mul_f64 v[219:220], v[102:103], v[86:87]
	v_mul_f64 v[86:87], v[100:101], v[86:87]
	v_fma_f64 v[178:179], v[181:182], v[4:5], v[178:179]
	v_fma_f64 v[4:5], v[183:184], v[4:5], -v[6:7]
	v_mul_f64 v[6:7], v[106:107], v[98:99]
	v_mul_f64 v[98:99], v[104:105], v[98:99]
	;; [unrolled: 1-line block ×4, first 2 shown]
	v_fma_f64 v[168:169], v[168:169], v[28:29], v[189:190]
	v_fma_f64 v[28:29], v[170:171], v[28:29], -v[30:31]
	v_mul_f64 v[30:31], v[114:115], v[90:91]
	v_mul_f64 v[90:91], v[112:113], v[90:91]
	v_fma_f64 v[170:171], v[185:186], v[16:17], v[191:192]
	v_fma_f64 v[16:17], v[187:188], v[16:17], -v[18:19]
	v_fma_f64 v[18:19], v[160:161], v[0:1], v[193:194]
	v_fma_f64 v[2:3], v[162:163], v[0:1], -v[2:3]
	;; [unrolled: 2-line block ×18, first 2 shown]
	v_add_f64 v[94:95], v[168:169], v[170:171]
	v_add_f64 v[106:107], v[178:179], v[18:19]
	v_add_f64 v[114:115], v[28:29], v[16:17]
	v_add_f64 v[108:109], v[168:169], -v[178:179]
	v_add_f64 v[110:111], v[170:171], -v[18:19]
	v_add_f64 v[90:91], v[52:53], v[178:179]
	v_add_f64 v[112:113], v[54:55], v[4:5]
	v_add_f64 v[102:103], v[178:179], -v[168:169]
	v_add_f64 v[104:105], v[18:19], -v[170:171]
	v_add_f64 v[124:125], v[4:5], v[2:3]
	v_add_f64 v[98:99], v[4:5], -v[2:3]
	v_add_f64 v[120:121], v[4:5], -v[28:29]
	;; [unrolled: 1-line block ×5, first 2 shown]
	v_add_f64 v[128:129], v[40:41], v[0:1]
	v_add_f64 v[130:131], v[22:23], v[26:27]
	;; [unrolled: 1-line block ×4, first 2 shown]
	v_add_f64 v[136:137], v[0:1], -v[22:23]
	v_add_f64 v[138:139], v[14:15], -v[26:27]
	v_add_f64 v[140:141], v[0:1], v[14:15]
	v_add_f64 v[142:143], v[22:23], -v[0:1]
	v_add_f64 v[150:151], v[0:1], -v[14:15]
	;; [unrolled: 1-line block ×4, first 2 shown]
	v_add_f64 v[156:157], v[20:21], v[8:9]
	v_add_f64 v[132:133], v[20:21], -v[8:9]
	v_add_f64 v[144:145], v[26:27], -v[14:15]
	;; [unrolled: 1-line block ×4, first 2 shown]
	v_add_f64 v[160:161], v[44:45], v[10:11]
	v_add_f64 v[162:163], v[58:59], v[82:83]
	;; [unrolled: 1-line block ×4, first 2 shown]
	v_add_f64 v[116:117], v[178:179], -v[18:19]
	v_add_f64 v[178:179], v[10:11], -v[58:59]
	v_add_f64 v[183:184], v[10:11], v[74:75]
	v_add_f64 v[185:186], v[58:59], -v[10:11]
	v_add_f64 v[193:194], v[10:11], -v[74:75]
	v_add_f64 v[10:11], v[56:57], -v[80:81]
	v_add_f64 v[197:198], v[48:49], -v[72:73]
	v_add_f64 v[199:200], v[56:57], v[48:49]
	v_add_f64 v[164:165], v[56:57], -v[48:49]
	v_add_f64 v[56:57], v[80:81], -v[56:57]
	;; [unrolled: 1-line block ×3, first 2 shown]
	v_add_f64 v[203:204], v[36:37], v[50:51]
	v_add_f64 v[205:206], v[66:67], v[78:79]
	;; [unrolled: 1-line block ×6, first 2 shown]
	v_add_f64 v[207:208], v[64:65], -v[60:61]
	v_add_f64 v[227:228], v[64:65], -v[76:77]
	v_add_f64 v[64:65], v[76:77], -v[64:65]
	v_add_f64 v[233:234], v[68:69], -v[60:61]
	v_add_f64 v[235:236], v[32:33], v[62:63]
	v_add_f64 v[237:238], v[6:7], v[96:97]
	;; [unrolled: 1-line block ×3, first 2 shown]
	v_fma_f64 v[94:95], v[94:95], -0.5, v[52:53]
	v_fma_f64 v[52:53], v[106:107], -0.5, v[52:53]
	;; [unrolled: 1-line block ×3, first 2 shown]
	v_add_f64 v[114:115], v[86:87], v[92:93]
	v_add_f64 v[247:248], v[62:63], v[30:31]
	;; [unrolled: 1-line block ×4, first 2 shown]
	v_add_f64 v[100:101], v[28:29], -v[16:17]
	v_add_f64 v[118:119], v[168:169], -v[170:171]
	;; [unrolled: 1-line block ×3, first 2 shown]
	v_add_f64 v[90:91], v[90:91], v[168:169]
	v_add_f64 v[168:169], v[84:85], -v[86:87]
	v_add_f64 v[84:85], v[86:87], -v[84:85]
	v_add_f64 v[28:29], v[112:113], v[28:29]
	v_add_f64 v[112:113], v[92:93], -v[88:89]
	v_fma_f64 v[54:55], v[124:125], -0.5, v[54:55]
	v_add_f64 v[102:103], v[102:103], v[104:105]
	v_add_f64 v[104:105], v[88:89], -v[92:93]
	v_add_f64 v[134:135], v[24:25], -v[12:13]
	v_add_f64 v[152:153], v[22:23], -v[26:27]
	v_add_f64 v[120:121], v[120:121], v[122:123]
	v_add_f64 v[122:123], v[4:5], v[126:127]
	v_add_f64 v[4:5], v[128:129], v[22:23]
	v_fma_f64 v[22:23], v[130:131], -0.5, v[40:41]
	v_add_f64 v[24:25], v[146:147], v[24:25]
	v_fma_f64 v[130:131], v[148:149], -0.5, v[42:43]
	v_add_f64 v[181:182], v[74:75], -v[82:83]
	v_add_f64 v[126:127], v[136:137], v[138:139]
	v_fma_f64 v[40:41], v[140:141], -0.5, v[40:41]
	v_add_f64 v[136:137], v[0:1], v[154:155]
	v_fma_f64 v[0:1], v[156:157], -0.5, v[42:43]
	v_add_f64 v[166:167], v[80:81], -v[72:73]
	v_add_f64 v[128:129], v[142:143], v[144:145]
	v_add_f64 v[138:139], v[20:21], v[158:159]
	;; [unrolled: 1-line block ×3, first 2 shown]
	v_fma_f64 v[42:43], v[162:163], -0.5, v[44:45]
	v_add_f64 v[80:81], v[189:190], v[80:81]
	v_fma_f64 v[142:143], v[191:192], -0.5, v[46:47]
	v_add_f64 v[187:188], v[82:83], -v[74:75]
	v_add_f64 v[195:196], v[58:59], -v[82:83]
	v_fma_f64 v[44:45], v[183:184], -0.5, v[44:45]
	v_add_f64 v[144:145], v[10:11], v[197:198]
	v_fma_f64 v[10:11], v[199:200], -0.5, v[46:47]
	v_add_f64 v[209:210], v[76:77], -v[68:69]
	v_add_f64 v[211:212], v[50:51], -v[66:67]
	;; [unrolled: 1-line block ×4, first 2 shown]
	v_add_f64 v[146:147], v[56:57], v[201:202]
	v_add_f64 v[46:47], v[203:204], v[66:67]
	v_fma_f64 v[56:57], v[205:206], -0.5, v[36:37]
	v_add_f64 v[76:77], v[221:222], v[76:77]
	v_fma_f64 v[154:155], v[223:224], -0.5, v[38:39]
	v_add_f64 v[225:226], v[66:67], -v[78:79]
	v_fma_f64 v[36:37], v[215:216], -0.5, v[36:37]
	v_fma_f64 v[38:39], v[231:232], -0.5, v[38:39]
	v_add_f64 v[241:242], v[86:87], -v[92:93]
	v_add_f64 v[243:244], v[62:63], -v[6:7]
	;; [unrolled: 1-line block ×5, first 2 shown]
	v_add_f64 v[158:159], v[64:65], v[233:234]
	v_add_f64 v[6:7], v[235:236], v[6:7]
	v_fma_f64 v[64:65], v[237:238], -0.5, v[32:33]
	v_add_f64 v[86:87], v[253:254], v[86:87]
	v_fma_f64 v[114:115], v[114:115], -0.5, v[34:35]
	v_fma_f64 v[32:33], v[247:248], -0.5, v[32:33]
	;; [unrolled: 1-line block ×3, first 2 shown]
	v_add_f64 v[110:111], v[84:85], v[112:113]
	v_add_f64 v[84:85], v[90:91], v[170:171]
	v_fma_f64 v[90:91], v[98:99], s[8:9], v[94:95]
	v_fma_f64 v[94:95], v[98:99], s[12:13], v[94:95]
	;; [unrolled: 1-line block ×4, first 2 shown]
	v_add_f64 v[16:17], v[28:29], v[16:17]
	v_fma_f64 v[28:29], v[116:117], s[12:13], v[106:107]
	v_add_f64 v[104:105], v[168:169], v[104:105]
	v_fma_f64 v[106:107], v[116:117], s[8:9], v[106:107]
	v_fma_f64 v[168:169], v[118:119], s[8:9], v[54:55]
	;; [unrolled: 1-line block ×3, first 2 shown]
	v_add_f64 v[4:5], v[4:5], v[26:27]
	v_fma_f64 v[26:27], v[132:133], s[8:9], v[22:23]
	v_fma_f64 v[22:23], v[132:133], s[12:13], v[22:23]
	v_add_f64 v[12:13], v[24:25], v[12:13]
	v_fma_f64 v[24:25], v[150:151], s[12:13], v[130:131]
	v_add_f64 v[58:59], v[178:179], v[181:182]
	v_fma_f64 v[170:171], v[134:135], s[12:13], v[40:41]
	v_fma_f64 v[130:131], v[150:151], s[8:9], v[130:131]
	;; [unrolled: 1-line block ×5, first 2 shown]
	v_add_f64 v[20:21], v[20:21], v[82:83]
	v_fma_f64 v[82:83], v[164:165], s[8:9], v[42:43]
	v_add_f64 v[72:73], v[80:81], v[72:73]
	v_fma_f64 v[80:81], v[193:194], s[12:13], v[142:143]
	;; [unrolled: 2-line block ×3, first 2 shown]
	v_fma_f64 v[183:184], v[166:167], s[12:13], v[44:45]
	v_fma_f64 v[142:143], v[193:194], s[8:9], v[142:143]
	;; [unrolled: 1-line block ×5, first 2 shown]
	v_add_f64 v[213:214], v[70:71], -v[78:79]
	v_add_f64 v[219:220], v[78:79], -v[70:71]
	;; [unrolled: 1-line block ×3, first 2 shown]
	v_add_f64 v[46:47], v[46:47], v[78:79]
	v_fma_f64 v[78:79], v[207:208], s[8:9], v[56:57]
	v_add_f64 v[68:69], v[76:77], v[68:69]
	v_fma_f64 v[76:77], v[50:51], s[12:13], v[154:155]
	v_fma_f64 v[56:57], v[207:208], s[12:13], v[56:57]
	v_fma_f64 v[189:190], v[209:210], s[12:13], v[36:37]
	v_fma_f64 v[191:192], v[225:226], s[8:9], v[38:39]
	v_fma_f64 v[36:37], v[209:210], s[8:9], v[36:37]
	v_fma_f64 v[38:39], v[225:226], s[12:13], v[38:39]
	v_fma_f64 v[154:155], v[50:51], s[8:9], v[154:155]
	v_add_f64 v[245:246], v[30:31], -v[96:97]
	v_add_f64 v[251:252], v[96:97], -v[30:31]
	v_add_f64 v[96:97], v[6:7], v[96:97]
	v_fma_f64 v[197:198], v[239:240], s[8:9], v[64:65]
	v_add_f64 v[86:87], v[86:87], v[92:93]
	v_fma_f64 v[92:93], v[62:63], s[12:13], v[114:115]
	v_fma_f64 v[199:200], v[241:242], s[12:13], v[32:33]
	;; [unrolled: 1-line block ×7, first 2 shown]
	v_add_f64 v[0:1], v[84:85], v[18:19]
	v_fma_f64 v[84:85], v[100:101], s[4:5], v[90:91]
	v_fma_f64 v[90:91], v[100:101], s[6:7], v[94:95]
	;; [unrolled: 1-line block ×8, first 2 shown]
	v_add_f64 v[2:3], v[16:17], v[2:3]
	v_fma_f64 v[112:113], v[134:135], s[4:5], v[26:27]
	v_fma_f64 v[116:117], v[134:135], s[6:7], v[22:23]
	;; [unrolled: 1-line block ×8, first 2 shown]
	v_add_f64 v[4:5], v[4:5], v[14:15]
	v_add_f64 v[6:7], v[12:13], v[8:9]
	;; [unrolled: 1-line block ×3, first 2 shown]
	v_fma_f64 v[74:75], v[166:167], s[4:5], v[82:83]
	v_add_f64 v[10:11], v[72:73], v[48:49]
	v_fma_f64 v[72:73], v[195:196], s[6:7], v[80:81]
	v_fma_f64 v[82:83], v[166:167], s[6:7], v[42:43]
	;; [unrolled: 1-line block ×7, first 2 shown]
	v_add_f64 v[66:67], v[211:212], v[213:214]
	v_add_f64 v[156:157], v[227:228], v[229:230]
	;; [unrolled: 1-line block ×3, first 2 shown]
	v_fma_f64 v[70:71], v[209:210], s[4:5], v[78:79]
	v_fma_f64 v[76:77], v[225:226], s[6:7], v[76:77]
	v_add_f64 v[148:149], v[217:218], v[219:220]
	v_fma_f64 v[78:79], v[209:210], s[6:7], v[56:57]
	v_fma_f64 v[170:171], v[207:208], s[4:5], v[189:190]
	;; [unrolled: 1-line block ×6, first 2 shown]
	v_add_f64 v[160:161], v[243:244], v[245:246]
	v_add_f64 v[16:17], v[96:97], v[30:31]
	v_fma_f64 v[96:97], v[241:242], s[4:5], v[197:198]
	v_add_f64 v[18:19], v[86:87], v[88:89]
	v_fma_f64 v[86:87], v[124:125], s[6:7], v[92:93]
	;; [unrolled: 2-line block ×3, first 2 shown]
	v_fma_f64 v[92:93], v[62:63], s[6:7], v[201:202]
	v_fma_f64 v[189:190], v[239:240], s[6:7], v[32:33]
	;; [unrolled: 1-line block ×5, first 2 shown]
	v_add_f64 v[14:15], v[68:69], v[60:61]
	v_fma_f64 v[20:21], v[102:103], s[0:1], v[84:85]
	v_fma_f64 v[22:23], v[120:121], s[0:1], v[98:99]
	;; [unrolled: 1-line block ×8, first 2 shown]
	ds_write_b128 v180, v[0:3]
	v_fma_f64 v[0:1], v[126:127], s[0:1], v[112:113]
	v_fma_f64 v[2:3], v[136:137], s[0:1], v[134:135]
	;; [unrolled: 1-line block ×8, first 2 shown]
	ds_write_b128 v180, v[4:7] offset:1440
	v_fma_f64 v[4:5], v[58:59], s[0:1], v[74:75]
	v_fma_f64 v[6:7], v[144:145], s[0:1], v[72:73]
	;; [unrolled: 1-line block ×8, first 2 shown]
	ds_write_b128 v180, v[8:11] offset:2880
	v_fma_f64 v[8:9], v[66:67], s[0:1], v[70:71]
	v_fma_f64 v[10:11], v[156:157], s[0:1], v[76:77]
	;; [unrolled: 1-line block ×16, first 2 shown]
	ds_write_b128 v180, v[12:15] offset:4320
	ds_write_b128 v180, v[16:19] offset:5760
	;; [unrolled: 1-line block ×22, first 2 shown]
	s_waitcnt lgkmcnt(0)
	s_barrier
	buffer_gl0_inv
	s_and_saveexec_b32 s0, vcc_lo
	s_cbranch_execz .LBB0_33
; %bb.32:
	v_mul_lo_u32 v2, s3, v176
	v_mul_lo_u32 v3, s2, v177
	v_mad_u64_u32 v[0:1], null, s2, v176, 0
	v_mov_b32_e32 v175, 0
	v_lshlrev_b64 v[8:9], 4, v[172:173]
	v_lshl_add_u32 v28, v174, 4, 0
	v_add_nc_u32_e32 v10, 0x5a, v174
	v_add_nc_u32_e32 v12, 0xb4, v174
	v_lshlrev_b64 v[14:15], 4, v[174:175]
	v_add3_u32 v1, v1, v3, v2
	v_mov_b32_e32 v11, v175
	v_mov_b32_e32 v13, v175
	v_add_nc_u32_e32 v22, 0x10e, v174
	v_mov_b32_e32 v23, v175
	v_lshlrev_b64 v[16:17], 4, v[0:1]
	ds_read_b128 v[0:3], v28
	ds_read_b128 v[4:7], v28 offset:1440
	v_add_nc_u32_e32 v24, 0x168, v174
	v_mov_b32_e32 v25, v175
	v_lshlrev_b64 v[22:23], 4, v[22:23]
	v_add_co_u32 v18, vcc_lo, s10, v16
	v_add_co_ci_u32_e32 v19, vcc_lo, s11, v17, vcc_lo
	v_lshlrev_b64 v[16:17], 4, v[10:11]
	v_add_co_u32 v30, vcc_lo, v18, v8
	v_add_co_ci_u32_e32 v31, vcc_lo, v19, v9, vcc_lo
	;; [unrolled: 3-line block ×3, first 2 shown]
	ds_read_b128 v[8:11], v28 offset:2880
	ds_read_b128 v[12:15], v28 offset:4320
	v_add_co_u32 v16, vcc_lo, v30, v16
	v_add_co_ci_u32_e32 v17, vcc_lo, v31, v17, vcc_lo
	v_add_co_u32 v18, vcc_lo, v30, v18
	v_add_co_ci_u32_e32 v19, vcc_lo, v31, v19, vcc_lo
	;; [unrolled: 2-line block ×3, first 2 shown]
	s_waitcnt lgkmcnt(3)
	global_store_dwordx4 v[20:21], v[0:3], off
	s_waitcnt lgkmcnt(2)
	global_store_dwordx4 v[16:17], v[4:7], off
	s_waitcnt lgkmcnt(1)
	global_store_dwordx4 v[18:19], v[8:11], off
	s_waitcnt lgkmcnt(0)
	global_store_dwordx4 v[22:23], v[12:15], off
	v_lshlrev_b64 v[0:1], 4, v[24:25]
	v_add_nc_u32_e32 v8, 0x1c2, v174
	v_mov_b32_e32 v9, v175
	v_add_nc_u32_e32 v10, 0x21c, v174
	v_mov_b32_e32 v11, v175
	v_add_nc_u32_e32 v22, 0x276, v174
	v_add_co_u32 v16, vcc_lo, v30, v0
	v_add_co_ci_u32_e32 v17, vcc_lo, v31, v1, vcc_lo
	ds_read_b128 v[0:3], v28 offset:5760
	ds_read_b128 v[4:7], v28 offset:7200
	v_lshlrev_b64 v[18:19], 4, v[8:9]
	v_lshlrev_b64 v[20:21], 4, v[10:11]
	ds_read_b128 v[8:11], v28 offset:8640
	ds_read_b128 v[12:15], v28 offset:10080
	v_mov_b32_e32 v23, v175
	v_add_nc_u32_e32 v24, 0x2d0, v174
	v_add_co_u32 v18, vcc_lo, v30, v18
	v_lshlrev_b64 v[22:23], 4, v[22:23]
	v_add_co_ci_u32_e32 v19, vcc_lo, v31, v19, vcc_lo
	v_add_co_u32 v20, vcc_lo, v30, v20
	v_add_co_ci_u32_e32 v21, vcc_lo, v31, v21, vcc_lo
	v_add_co_u32 v22, vcc_lo, v30, v22
	v_add_co_ci_u32_e32 v23, vcc_lo, v31, v23, vcc_lo
	s_waitcnt lgkmcnt(3)
	global_store_dwordx4 v[16:17], v[0:3], off
	s_waitcnt lgkmcnt(2)
	global_store_dwordx4 v[18:19], v[4:7], off
	s_waitcnt lgkmcnt(1)
	global_store_dwordx4 v[20:21], v[8:11], off
	s_waitcnt lgkmcnt(0)
	global_store_dwordx4 v[22:23], v[12:15], off
	v_lshlrev_b64 v[0:1], 4, v[24:25]
	v_add_nc_u32_e32 v8, 0x32a, v174
	v_mov_b32_e32 v9, v175
	v_add_nc_u32_e32 v10, 0x384, v174
	v_mov_b32_e32 v11, v175
	v_add_nc_u32_e32 v22, 0x3de, v174
	v_add_co_u32 v16, vcc_lo, v30, v0
	v_add_co_ci_u32_e32 v17, vcc_lo, v31, v1, vcc_lo
	ds_read_b128 v[0:3], v28 offset:11520
	ds_read_b128 v[4:7], v28 offset:12960
	v_lshlrev_b64 v[18:19], 4, v[8:9]
	v_lshlrev_b64 v[20:21], 4, v[10:11]
	ds_read_b128 v[8:11], v28 offset:14400
	ds_read_b128 v[12:15], v28 offset:15840
	v_mov_b32_e32 v23, v175
	v_add_nc_u32_e32 v24, 0x438, v174
	v_add_co_u32 v18, vcc_lo, v30, v18
	v_lshlrev_b64 v[22:23], 4, v[22:23]
	v_add_co_ci_u32_e32 v19, vcc_lo, v31, v19, vcc_lo
	v_add_co_u32 v20, vcc_lo, v30, v20
	v_add_co_ci_u32_e32 v21, vcc_lo, v31, v21, vcc_lo
	v_add_co_u32 v22, vcc_lo, v30, v22
	v_add_co_ci_u32_e32 v23, vcc_lo, v31, v23, vcc_lo
	;; [unrolled: 31-line block ×3, first 2 shown]
	s_waitcnt lgkmcnt(3)
	global_store_dwordx4 v[16:17], v[0:3], off
	s_waitcnt lgkmcnt(2)
	global_store_dwordx4 v[18:19], v[4:7], off
	;; [unrolled: 2-line block ×4, first 2 shown]
	v_lshlrev_b64 v[0:1], 4, v[24:25]
	v_add_nc_u32_e32 v8, 0x5fa, v174
	v_mov_b32_e32 v9, v175
	v_add_nc_u32_e32 v10, 0x654, v174
	v_mov_b32_e32 v11, v175
	v_add_nc_u32_e32 v22, 0x6ae, v174
	v_add_co_u32 v16, vcc_lo, v30, v0
	v_add_co_ci_u32_e32 v17, vcc_lo, v31, v1, vcc_lo
	ds_read_b128 v[0:3], v28 offset:23040
	ds_read_b128 v[4:7], v28 offset:24480
	v_lshlrev_b64 v[18:19], 4, v[8:9]
	v_lshlrev_b64 v[20:21], 4, v[10:11]
	ds_read_b128 v[8:11], v28 offset:25920
	ds_read_b128 v[12:15], v28 offset:27360
	v_mov_b32_e32 v23, v175
	v_add_nc_u32_e32 v24, 0x708, v174
	v_add_co_u32 v18, vcc_lo, v30, v18
	v_lshlrev_b64 v[22:23], 4, v[22:23]
	v_add_co_ci_u32_e32 v19, vcc_lo, v31, v19, vcc_lo
	v_add_co_u32 v20, vcc_lo, v30, v20
	v_add_co_ci_u32_e32 v21, vcc_lo, v31, v21, vcc_lo
	v_add_co_u32 v22, vcc_lo, v30, v22
	s_waitcnt lgkmcnt(3)
	global_store_dwordx4 v[16:17], v[0:3], off
	s_waitcnt lgkmcnt(2)
	global_store_dwordx4 v[18:19], v[4:7], off
	v_add_nc_u32_e32 v2, 0x762, v174
	v_mov_b32_e32 v3, v175
	v_add_co_ci_u32_e32 v23, vcc_lo, v31, v23, vcc_lo
	v_lshlrev_b64 v[0:1], 4, v[24:25]
	s_waitcnt lgkmcnt(1)
	global_store_dwordx4 v[20:21], v[8:11], off
	s_waitcnt lgkmcnt(0)
	global_store_dwordx4 v[22:23], v[12:15], off
	v_lshlrev_b64 v[8:9], 4, v[2:3]
	v_add_nc_u32_e32 v12, 0x7bc, v174
	v_mov_b32_e32 v13, v175
	v_add_co_u32 v20, vcc_lo, v30, v0
	v_add_co_ci_u32_e32 v21, vcc_lo, v31, v1, vcc_lo
	v_add_co_u32 v22, vcc_lo, v30, v8
	ds_read_b128 v[0:3], v28 offset:28800
	ds_read_b128 v[4:7], v28 offset:30240
	v_add_co_ci_u32_e32 v23, vcc_lo, v31, v9, vcc_lo
	ds_read_b128 v[8:11], v28 offset:31680
	v_lshlrev_b64 v[26:27], 4, v[12:13]
	ds_read_b128 v[12:15], v28 offset:33120
	ds_read_b128 v[16:19], v28 offset:34560
	v_add_nc_u32_e32 v24, 0x816, v174
	v_add_nc_u32_e32 v174, 0x870, v174
	v_add_co_u32 v26, vcc_lo, v30, v26
	v_lshlrev_b64 v[24:25], 4, v[24:25]
	v_lshlrev_b64 v[28:29], 4, v[174:175]
	v_add_co_ci_u32_e32 v27, vcc_lo, v31, v27, vcc_lo
	v_add_co_u32 v24, vcc_lo, v30, v24
	v_add_co_ci_u32_e32 v25, vcc_lo, v31, v25, vcc_lo
	v_add_co_u32 v28, vcc_lo, v30, v28
	v_add_co_ci_u32_e32 v29, vcc_lo, v31, v29, vcc_lo
	s_waitcnt lgkmcnt(4)
	global_store_dwordx4 v[20:21], v[0:3], off
	s_waitcnt lgkmcnt(3)
	global_store_dwordx4 v[22:23], v[4:7], off
	;; [unrolled: 2-line block ×5, first 2 shown]
.LBB0_33:
	s_endpgm
	.section	.rodata,"a",@progbits
	.p2align	6, 0x0
	.amdhsa_kernel fft_rtc_back_len2250_factors_10_3_5_3_5_wgs_90_tpt_90_halfLds_dp_op_CI_CI_unitstride_sbrr_C2R_dirReg
		.amdhsa_group_segment_fixed_size 0
		.amdhsa_private_segment_fixed_size 0
		.amdhsa_kernarg_size 104
		.amdhsa_user_sgpr_count 6
		.amdhsa_user_sgpr_private_segment_buffer 1
		.amdhsa_user_sgpr_dispatch_ptr 0
		.amdhsa_user_sgpr_queue_ptr 0
		.amdhsa_user_sgpr_kernarg_segment_ptr 1
		.amdhsa_user_sgpr_dispatch_id 0
		.amdhsa_user_sgpr_flat_scratch_init 0
		.amdhsa_user_sgpr_private_segment_size 0
		.amdhsa_wavefront_size32 1
		.amdhsa_uses_dynamic_stack 0
		.amdhsa_system_sgpr_private_segment_wavefront_offset 0
		.amdhsa_system_sgpr_workgroup_id_x 1
		.amdhsa_system_sgpr_workgroup_id_y 0
		.amdhsa_system_sgpr_workgroup_id_z 0
		.amdhsa_system_sgpr_workgroup_info 0
		.amdhsa_system_vgpr_workitem_id 0
		.amdhsa_next_free_vgpr 255
		.amdhsa_next_free_sgpr 27
		.amdhsa_reserve_vcc 1
		.amdhsa_reserve_flat_scratch 0
		.amdhsa_float_round_mode_32 0
		.amdhsa_float_round_mode_16_64 0
		.amdhsa_float_denorm_mode_32 3
		.amdhsa_float_denorm_mode_16_64 3
		.amdhsa_dx10_clamp 1
		.amdhsa_ieee_mode 1
		.amdhsa_fp16_overflow 0
		.amdhsa_workgroup_processor_mode 1
		.amdhsa_memory_ordered 1
		.amdhsa_forward_progress 0
		.amdhsa_shared_vgpr_count 0
		.amdhsa_exception_fp_ieee_invalid_op 0
		.amdhsa_exception_fp_denorm_src 0
		.amdhsa_exception_fp_ieee_div_zero 0
		.amdhsa_exception_fp_ieee_overflow 0
		.amdhsa_exception_fp_ieee_underflow 0
		.amdhsa_exception_fp_ieee_inexact 0
		.amdhsa_exception_int_div_zero 0
	.end_amdhsa_kernel
	.text
.Lfunc_end0:
	.size	fft_rtc_back_len2250_factors_10_3_5_3_5_wgs_90_tpt_90_halfLds_dp_op_CI_CI_unitstride_sbrr_C2R_dirReg, .Lfunc_end0-fft_rtc_back_len2250_factors_10_3_5_3_5_wgs_90_tpt_90_halfLds_dp_op_CI_CI_unitstride_sbrr_C2R_dirReg
                                        ; -- End function
	.section	.AMDGPU.csdata,"",@progbits
; Kernel info:
; codeLenInByte = 24224
; NumSgprs: 29
; NumVgprs: 255
; ScratchSize: 0
; MemoryBound: 0
; FloatMode: 240
; IeeeMode: 1
; LDSByteSize: 0 bytes/workgroup (compile time only)
; SGPRBlocks: 3
; VGPRBlocks: 31
; NumSGPRsForWavesPerEU: 29
; NumVGPRsForWavesPerEU: 255
; Occupancy: 4
; WaveLimiterHint : 1
; COMPUTE_PGM_RSRC2:SCRATCH_EN: 0
; COMPUTE_PGM_RSRC2:USER_SGPR: 6
; COMPUTE_PGM_RSRC2:TRAP_HANDLER: 0
; COMPUTE_PGM_RSRC2:TGID_X_EN: 1
; COMPUTE_PGM_RSRC2:TGID_Y_EN: 0
; COMPUTE_PGM_RSRC2:TGID_Z_EN: 0
; COMPUTE_PGM_RSRC2:TIDIG_COMP_CNT: 0
	.text
	.p2alignl 6, 3214868480
	.fill 48, 4, 3214868480
	.type	__hip_cuid_cf6eb02a1e579c6d,@object ; @__hip_cuid_cf6eb02a1e579c6d
	.section	.bss,"aw",@nobits
	.globl	__hip_cuid_cf6eb02a1e579c6d
__hip_cuid_cf6eb02a1e579c6d:
	.byte	0                               ; 0x0
	.size	__hip_cuid_cf6eb02a1e579c6d, 1

	.ident	"AMD clang version 19.0.0git (https://github.com/RadeonOpenCompute/llvm-project roc-6.4.0 25133 c7fe45cf4b819c5991fe208aaa96edf142730f1d)"
	.section	".note.GNU-stack","",@progbits
	.addrsig
	.addrsig_sym __hip_cuid_cf6eb02a1e579c6d
	.amdgpu_metadata
---
amdhsa.kernels:
  - .args:
      - .actual_access:  read_only
        .address_space:  global
        .offset:         0
        .size:           8
        .value_kind:     global_buffer
      - .offset:         8
        .size:           8
        .value_kind:     by_value
      - .actual_access:  read_only
        .address_space:  global
        .offset:         16
        .size:           8
        .value_kind:     global_buffer
      - .actual_access:  read_only
        .address_space:  global
        .offset:         24
        .size:           8
        .value_kind:     global_buffer
      - .actual_access:  read_only
        .address_space:  global
        .offset:         32
        .size:           8
        .value_kind:     global_buffer
      - .offset:         40
        .size:           8
        .value_kind:     by_value
      - .actual_access:  read_only
        .address_space:  global
        .offset:         48
        .size:           8
        .value_kind:     global_buffer
      - .actual_access:  read_only
        .address_space:  global
        .offset:         56
        .size:           8
        .value_kind:     global_buffer
      - .offset:         64
        .size:           4
        .value_kind:     by_value
      - .actual_access:  read_only
        .address_space:  global
        .offset:         72
        .size:           8
        .value_kind:     global_buffer
      - .actual_access:  read_only
        .address_space:  global
        .offset:         80
        .size:           8
        .value_kind:     global_buffer
      - .actual_access:  read_only
        .address_space:  global
        .offset:         88
        .size:           8
        .value_kind:     global_buffer
      - .actual_access:  write_only
        .address_space:  global
        .offset:         96
        .size:           8
        .value_kind:     global_buffer
    .group_segment_fixed_size: 0
    .kernarg_segment_align: 8
    .kernarg_segment_size: 104
    .language:       OpenCL C
    .language_version:
      - 2
      - 0
    .max_flat_workgroup_size: 90
    .name:           fft_rtc_back_len2250_factors_10_3_5_3_5_wgs_90_tpt_90_halfLds_dp_op_CI_CI_unitstride_sbrr_C2R_dirReg
    .private_segment_fixed_size: 0
    .sgpr_count:     29
    .sgpr_spill_count: 0
    .symbol:         fft_rtc_back_len2250_factors_10_3_5_3_5_wgs_90_tpt_90_halfLds_dp_op_CI_CI_unitstride_sbrr_C2R_dirReg.kd
    .uniform_work_group_size: 1
    .uses_dynamic_stack: false
    .vgpr_count:     255
    .vgpr_spill_count: 0
    .wavefront_size: 32
    .workgroup_processor_mode: 1
amdhsa.target:   amdgcn-amd-amdhsa--gfx1030
amdhsa.version:
  - 1
  - 2
...

	.end_amdgpu_metadata
